;; amdgpu-corpus repo=ROCm/rocFFT kind=compiled arch=gfx1030 opt=O3
	.text
	.amdgcn_target "amdgcn-amd-amdhsa--gfx1030"
	.amdhsa_code_object_version 6
	.protected	bluestein_single_back_len16384_dim1_half_op_CI_CI ; -- Begin function bluestein_single_back_len16384_dim1_half_op_CI_CI
	.globl	bluestein_single_back_len16384_dim1_half_op_CI_CI
	.p2align	8
	.type	bluestein_single_back_len16384_dim1_half_op_CI_CI,@function
bluestein_single_back_len16384_dim1_half_op_CI_CI: ; @bluestein_single_back_len16384_dim1_half_op_CI_CI
; %bb.0:
	s_load_dwordx4 s[16:19], s[4:5], 0x28
	s_mov_b32 s7, 0
	s_mov_b32 s1, exec_lo
	s_waitcnt lgkmcnt(0)
	v_cmpx_lt_u64_e64 s[6:7], s[16:17]
	s_cbranch_execz .LBB0_2
; %bb.1:
	s_clause 0x1
	s_load_dwordx4 s[0:3], s[4:5], 0x18
	s_load_dwordx4 s[8:11], s[4:5], 0x0
	v_mov_b32_e32 v51, s7
	v_mov_b32_e32 v50, s6
	v_lshlrev_b32_e32 v52, 2, v0
	v_or_b32_e32 v15, 0x200, v0
	v_or_b32_e32 v16, 0x400, v0
	;; [unrolled: 1-line block ×3, first 2 shown]
	s_load_dwordx2 s[4:5], s[4:5], 0x38
	v_or_b32_e32 v105, 0x2000, v52
	v_or_b32_e32 v93, 0x8000, v52
	;; [unrolled: 1-line block ×7, first 2 shown]
	v_lshlrev_b32_e32 v111, 2, v15
	v_or_b32_e32 v106, 0x2800, v52
	v_or_b32_e32 v103, 0x4800, v52
	;; [unrolled: 1-line block ×3, first 2 shown]
	s_waitcnt lgkmcnt(0)
	s_load_dwordx4 s[12:15], s[0:1], 0x0
	s_add_u32 s6, s8, 0x10000
	s_addc_u32 s7, s9, 0
	s_clause 0x6
	global_load_dword v83, v52, s[8:9]
	global_load_dword v82, v105, s[8:9]
	;; [unrolled: 1-line block ×7, first 2 shown]
	v_or_b32_e32 v97, 0x8800, v52
	v_or_b32_e32 v101, 0xa800, v52
	;; [unrolled: 1-line block ×4, first 2 shown]
	v_lshlrev_b32_e32 v89, 2, v16
	v_or_b32_e32 v88, 0x3000, v52
	v_or_b32_e32 v86, 0x5000, v52
	;; [unrolled: 1-line block ×7, first 2 shown]
	v_lshlrev_b32_e32 v107, 2, v17
	s_waitcnt lgkmcnt(0)
	v_mad_u64_u32 v[1:2], null, s14, v50, 0
	v_mad_u64_u32 v[3:4], null, s12, v0, 0
	s_lshl_b64 s[0:1], s[12:13], 13
	s_mul_i32 s14, s13, 0xffff2800
	v_or_b32_e32 v108, 0x3800, v52
	v_or_b32_e32 v109, 0x5800, v52
	;; [unrolled: 1-line block ×4, first 2 shown]
	v_mad_u64_u32 v[5:6], null, s15, v50, v[2:3]
	s_mul_hi_u32 s15, s12, 0xffff2800
	v_or_b32_e32 v117, 0xb800, v52
	v_or_b32_e32 v120, 0xd800, v52
	v_or_b32_e32 v119, 0xf800, v52
	v_mad_u64_u32 v[6:7], null, s13, v0, v[4:5]
	v_mov_b32_e32 v2, v5
	s_mul_i32 s13, s12, 0xffff2800
	s_sub_i32 s12, s15, s12
	s_add_i32 s12, s12, s14
	v_lshlrev_b64 v[1:2], 2, v[1:2]
	v_mov_b32_e32 v4, v6
	v_add_co_u32 v1, vcc_lo, s18, v1
	v_lshlrev_b64 v[3:4], 2, v[3:4]
	v_add_co_ci_u32_e32 v2, vcc_lo, s19, v2, vcc_lo
	v_add_co_u32 v1, vcc_lo, v1, v3
	v_add_co_ci_u32_e32 v2, vcc_lo, v2, v4, vcc_lo
	global_load_dword v5, v[1:2], off
	v_add_co_u32 v1, vcc_lo, v1, s0
	v_add_co_ci_u32_e32 v2, vcc_lo, s1, v2, vcc_lo
	v_add_co_u32 v3, vcc_lo, v1, s0
	v_add_co_ci_u32_e32 v4, vcc_lo, s1, v2, vcc_lo
	s_clause 0x1
	global_load_dword v6, v[1:2], off
	global_load_dword v7, v[3:4], off
	v_add_co_u32 v1, vcc_lo, v3, s0
	v_add_co_ci_u32_e32 v2, vcc_lo, s1, v4, vcc_lo
	v_add_co_u32 v3, vcc_lo, v1, s0
	v_add_co_ci_u32_e32 v4, vcc_lo, s1, v2, vcc_lo
	s_clause 0x1
	global_load_dword v8, v[1:2], off
	global_load_dword v9, v[3:4], off
	v_add_co_u32 v1, vcc_lo, v3, s0
	v_add_co_ci_u32_e32 v2, vcc_lo, s1, v4, vcc_lo
	v_add_co_u32 v3, vcc_lo, v1, s0
	v_add_co_ci_u32_e32 v4, vcc_lo, s1, v2, vcc_lo
	global_load_dword v10, v[1:2], off
	v_add_co_u32 v1, vcc_lo, v3, s0
	v_add_co_ci_u32_e32 v2, vcc_lo, s1, v4, vcc_lo
	global_load_dword v11, v[3:4], off
	v_add_co_u32 v3, vcc_lo, v1, s13
	v_add_co_ci_u32_e32 v4, vcc_lo, s12, v2, vcc_lo
	global_load_dword v79, v90, s[8:9]
	global_load_dword v12, v[1:2], off
	global_load_dword v77, v111, s[8:9]
	global_load_dword v13, v[3:4], off
	v_add_co_u32 v1, vcc_lo, v3, s0
	v_add_co_ci_u32_e32 v2, vcc_lo, s1, v4, vcc_lo
	global_load_dword v74, v106, s[8:9]
	v_add_co_u32 v3, vcc_lo, v1, s0
	v_add_co_ci_u32_e32 v4, vcc_lo, s1, v2, vcc_lo
	global_load_dword v14, v[1:2], off
	v_add_co_u32 v1, vcc_lo, v3, s0
	v_add_co_ci_u32_e32 v2, vcc_lo, s1, v4, vcc_lo
	global_load_dword v18, v[3:4], off
	s_clause 0x1
	global_load_dword v73, v103, s[8:9]
	global_load_dword v69, v98, s[8:9]
	global_load_dword v19, v[1:2], off
	v_add_co_u32 v1, vcc_lo, v1, s0
	v_add_co_ci_u32_e32 v2, vcc_lo, s1, v2, vcc_lo
	global_load_dword v20, v[1:2], off
	global_load_dword v71, v97, s[8:9]
	v_add_co_u32 v3, vcc_lo, v1, s0
	v_add_co_ci_u32_e32 v4, vcc_lo, s1, v2, vcc_lo
	global_load_dword v72, v101, s[8:9]
	v_add_co_u32 v1, vcc_lo, v3, s0
	v_add_co_ci_u32_e32 v2, vcc_lo, s1, v4, vcc_lo
	global_load_dword v21, v[3:4], off
	v_add_co_u32 v3, vcc_lo, v1, s0
	v_add_co_ci_u32_e32 v4, vcc_lo, s1, v2, vcc_lo
	global_load_dword v22, v[1:2], off
	global_load_dword v67, v99, s[8:9]
	v_add_co_u32 v1, vcc_lo, v3, s13
	v_add_co_ci_u32_e32 v2, vcc_lo, s12, v4, vcc_lo
	global_load_dword v23, v[3:4], off
	global_load_dword v70, v104, s[8:9]
	v_add_co_u32 v3, vcc_lo, v1, s0
	v_add_co_ci_u32_e32 v4, vcc_lo, s1, v2, vcc_lo
	global_load_dword v24, v[1:2], off
	s_clause 0x1
	global_load_dword v66, v89, s[8:9]
	global_load_dword v68, v88, s[8:9]
	global_load_dword v25, v[3:4], off
	v_add_co_u32 v1, vcc_lo, v3, s0
	v_add_co_ci_u32_e32 v2, vcc_lo, s1, v4, vcc_lo
	global_load_dword v65, v86, s[8:9]
	v_add_co_u32 v3, vcc_lo, v1, s0
	v_add_co_ci_u32_e32 v4, vcc_lo, s1, v2, vcc_lo
	global_load_dword v26, v[1:2], off
	v_add_co_u32 v1, vcc_lo, v3, s0
	v_add_co_ci_u32_e32 v2, vcc_lo, s1, v4, vcc_lo
	s_clause 0x1
	global_load_dword v64, v85, s[8:9]
	global_load_dword v63, v87, s[8:9]
	global_load_dword v27, v[3:4], off
	global_load_dword v62, v95, s[8:9]
	global_load_dword v28, v[1:2], off
	v_add_co_u32 v1, vcc_lo, v1, s0
	v_add_co_ci_u32_e32 v2, vcc_lo, s1, v2, vcc_lo
	global_load_dword v61, v100, s[8:9]
	v_add_co_u32 v3, vcc_lo, v1, s0
	v_add_co_ci_u32_e32 v4, vcc_lo, s1, v2, vcc_lo
	global_load_dword v29, v[1:2], off
	v_add_co_u32 v1, vcc_lo, v3, s0
	v_add_co_ci_u32_e32 v2, vcc_lo, s1, v4, vcc_lo
	global_load_dword v30, v[3:4], off
	v_add_co_u32 v3, vcc_lo, v1, s13
	v_add_co_ci_u32_e32 v4, vcc_lo, s12, v2, vcc_lo
	global_load_dword v60, v102, s[8:9]
	global_load_dword v31, v[1:2], off
	global_load_dword v59, v107, s[8:9]
	global_load_dword v32, v[3:4], off
	v_add_co_u32 v1, vcc_lo, v3, s0
	v_add_co_ci_u32_e32 v2, vcc_lo, s1, v4, vcc_lo
	global_load_dword v58, v108, s[8:9]
	v_add_co_u32 v3, vcc_lo, v1, s0
	v_add_co_ci_u32_e32 v4, vcc_lo, s1, v2, vcc_lo
	global_load_dword v33, v[1:2], off
	v_add_co_u32 v1, vcc_lo, v3, s0
	v_add_co_ci_u32_e32 v2, vcc_lo, s1, v4, vcc_lo
	global_load_dword v57, v109, s[8:9]
	global_load_dword v34, v[3:4], off
	s_clause 0x1
	global_load_dword v56, v110, s[8:9]
	global_load_dword v55, v112, s[8:9]
	global_load_dword v35, v[1:2], off
	v_add_co_u32 v1, vcc_lo, v1, s0
	v_add_co_ci_u32_e32 v2, vcc_lo, s1, v2, vcc_lo
	global_load_dword v51, v117, s[8:9]
	v_add_co_u32 v3, vcc_lo, v1, s0
	v_add_co_ci_u32_e32 v4, vcc_lo, s1, v2, vcc_lo
	global_load_dword v36, v[1:2], off
	v_add_co_u32 v1, vcc_lo, v3, s0
	v_add_co_ci_u32_e32 v2, vcc_lo, s1, v4, vcc_lo
	global_load_dword v37, v[3:4], off
	;; [unrolled: 3-line block ×3, first 2 shown]
	global_load_dword v2, v[3:4], off
	s_clause 0x1
	global_load_dword v54, v120, s[8:9]
	global_load_dword v53, v119, s[8:9]
	s_load_dwordx4 s[0:3], s[2:3], 0x0
	s_waitcnt vmcnt(56)
	v_lshrrev_b32_e32 v3, 16, v5
	v_mul_f16_sdwa v4, v83, v5 dst_sel:DWORD dst_unused:UNUSED_PAD src0_sel:WORD_1 src1_sel:DWORD
	v_mul_f16_sdwa v38, v83, v3 dst_sel:DWORD dst_unused:UNUSED_PAD src0_sel:WORD_1 src1_sel:DWORD
	v_fma_f16 v3, v83, v3, -v4
	s_waitcnt vmcnt(55)
	v_lshrrev_b32_e32 v39, 16, v6
	v_mul_f16_sdwa v40, v82, v6 dst_sel:DWORD dst_unused:UNUSED_PAD src0_sel:WORD_1 src1_sel:DWORD
	v_fmac_f16_e32 v38, v83, v5
	s_waitcnt vmcnt(54)
	v_lshrrev_b32_e32 v5, 16, v7
	v_mul_f16_sdwa v4, v82, v39 dst_sel:DWORD dst_unused:UNUSED_PAD src0_sel:WORD_1 src1_sel:DWORD
	v_fma_f16 v39, v82, v39, -v40
	v_mul_f16_sdwa v40, v81, v7 dst_sel:DWORD dst_unused:UNUSED_PAD src0_sel:WORD_1 src1_sel:DWORD
	v_pack_b32_f16 v3, v38, v3
	v_fmac_f16_e32 v4, v82, v6
	v_mul_f16_sdwa v6, v81, v5 dst_sel:DWORD dst_unused:UNUSED_PAD src0_sel:WORD_1 src1_sel:DWORD
	v_fma_f16 v5, v81, v5, -v40
	s_waitcnt vmcnt(53)
	v_lshrrev_b32_e32 v38, 16, v8
	v_mul_f16_sdwa v40, v80, v8 dst_sel:DWORD dst_unused:UNUSED_PAD src0_sel:WORD_1 src1_sel:DWORD
	v_pack_b32_f16 v4, v4, v39
	v_fmac_f16_e32 v6, v81, v7
	s_waitcnt vmcnt(52)
	v_lshrrev_b32_e32 v39, 16, v9
	v_mul_f16_sdwa v7, v80, v38 dst_sel:DWORD dst_unused:UNUSED_PAD src0_sel:WORD_1 src1_sel:DWORD
	v_fma_f16 v38, v80, v38, -v40
	v_mul_f16_sdwa v40, v78, v9 dst_sel:DWORD dst_unused:UNUSED_PAD src0_sel:WORD_1 src1_sel:DWORD
	v_pack_b32_f16 v5, v6, v5
	v_mul_f16_sdwa v6, v78, v39 dst_sel:DWORD dst_unused:UNUSED_PAD src0_sel:WORD_1 src1_sel:DWORD
	v_fmac_f16_e32 v7, v80, v8
	v_fma_f16 v39, v78, v39, -v40
	s_waitcnt vmcnt(51)
	v_lshrrev_b32_e32 v8, 16, v10
	v_mul_f16_sdwa v40, v76, v10 dst_sel:DWORD dst_unused:UNUSED_PAD src0_sel:WORD_1 src1_sel:DWORD
	v_pack_b32_f16 v7, v7, v38
	v_fmac_f16_e32 v6, v78, v9
	v_mul_f16_sdwa v9, v76, v8 dst_sel:DWORD dst_unused:UNUSED_PAD src0_sel:WORD_1 src1_sel:DWORD
	s_waitcnt vmcnt(50)
	v_lshrrev_b32_e32 v38, 16, v11
	v_fma_f16 v8, v76, v8, -v40
	v_mul_f16_sdwa v40, v75, v11 dst_sel:DWORD dst_unused:UNUSED_PAD src0_sel:WORD_1 src1_sel:DWORD
	v_pack_b32_f16 v6, v6, v39
	v_fmac_f16_e32 v9, v76, v10
	v_mul_f16_sdwa v10, v75, v38 dst_sel:DWORD dst_unused:UNUSED_PAD src0_sel:WORD_1 src1_sel:DWORD
	s_waitcnt vmcnt(48)
	v_lshrrev_b32_e32 v39, 16, v12
	v_fma_f16 v38, v75, v38, -v40
	;; [unrolled: 7-line block ×4, first 2 shown]
	v_mul_f16_sdwa v40, v74, v14 dst_sel:DWORD dst_unused:UNUSED_PAD src0_sel:WORD_1 src1_sel:DWORD
	v_pack_b32_f16 v9, v9, v39
	v_fmac_f16_e32 v12, v77, v13
	v_mul_f16_sdwa v13, v74, v38 dst_sel:DWORD dst_unused:UNUSED_PAD src0_sel:WORD_1 src1_sel:DWORD
	s_waitcnt vmcnt(43)
	v_lshrrev_b32_e32 v39, 16, v18
	s_waitcnt vmcnt(42)
	v_mul_f16_sdwa v41, v73, v18 dst_sel:DWORD dst_unused:UNUSED_PAD src0_sel:WORD_1 src1_sel:DWORD
	v_fma_f16 v38, v74, v38, -v40
	v_pack_b32_f16 v11, v12, v11
	v_fmac_f16_e32 v13, v74, v14
	v_mul_f16_sdwa v12, v73, v39 dst_sel:DWORD dst_unused:UNUSED_PAD src0_sel:WORD_1 src1_sel:DWORD
	v_fma_f16 v14, v73, v39, -v41
	s_waitcnt vmcnt(40)
	v_lshrrev_b32_e32 v39, 16, v19
	v_mul_f16_sdwa v40, v69, v19 dst_sel:DWORD dst_unused:UNUSED_PAD src0_sel:WORD_1 src1_sel:DWORD
	ds_write2st64_b32 v52, v3, v11 offset1:8
	v_pack_b32_f16 v3, v13, v38
	v_fmac_f16_e32 v12, v73, v18
	v_mul_f16_sdwa v11, v69, v39 dst_sel:DWORD dst_unused:UNUSED_PAD src0_sel:WORD_1 src1_sel:DWORD
	s_waitcnt vmcnt(39)
	v_lshrrev_b32_e32 v18, 16, v20
	s_waitcnt vmcnt(38)
	v_mul_f16_sdwa v38, v71, v20 dst_sel:DWORD dst_unused:UNUSED_PAD src0_sel:WORD_1 src1_sel:DWORD
	v_fma_f16 v13, v69, v39, -v40
	ds_write2st64_b32 v52, v4, v3 offset0:32 offset1:40
	v_pack_b32_f16 v3, v12, v14
	v_fmac_f16_e32 v11, v69, v19
	v_mul_f16_sdwa v4, v71, v18 dst_sel:DWORD dst_unused:UNUSED_PAD src0_sel:WORD_1 src1_sel:DWORD
	v_fma_f16 v12, v71, v18, -v38
	s_waitcnt vmcnt(36)
	v_lshrrev_b32_e32 v14, 16, v21
	v_mul_f16_sdwa v18, v72, v21 dst_sel:DWORD dst_unused:UNUSED_PAD src0_sel:WORD_1 src1_sel:DWORD
	ds_write2st64_b32 v52, v5, v3 offset0:64 offset1:72
	v_pack_b32_f16 v3, v11, v13
	v_fmac_f16_e32 v4, v71, v20
	v_mul_f16_sdwa v5, v72, v14 dst_sel:DWORD dst_unused:UNUSED_PAD src0_sel:WORD_1 src1_sel:DWORD
	v_fma_f16 v11, v72, v14, -v18
	s_waitcnt vmcnt(35)
	v_lshrrev_b32_e32 v13, 16, v22
	s_waitcnt vmcnt(34)
	v_mul_f16_sdwa v14, v67, v22 dst_sel:DWORD dst_unused:UNUSED_PAD src0_sel:WORD_1 src1_sel:DWORD
	ds_write2st64_b32 v52, v7, v3 offset0:96 offset1:104
	v_pack_b32_f16 v3, v4, v12
	v_fmac_f16_e32 v5, v72, v21
	v_mul_f16_sdwa v4, v67, v13 dst_sel:DWORD dst_unused:UNUSED_PAD src0_sel:WORD_1 src1_sel:DWORD
	v_fma_f16 v7, v67, v13, -v14
	s_waitcnt vmcnt(33)
	v_lshrrev_b32_e32 v12, 16, v23
	s_waitcnt vmcnt(32)
	;; [unrolled: 9-line block ×3, first 2 shown]
	v_mul_f16_sdwa v12, v66, v24 dst_sel:DWORD dst_unused:UNUSED_PAD src0_sel:WORD_1 src1_sel:DWORD
	ds_write2st64_b32 v52, v8, v3 offset0:160 offset1:168
	v_pack_b32_f16 v3, v4, v7
	v_fmac_f16_e32 v5, v70, v23
	v_mul_f16_sdwa v4, v66, v11 dst_sel:DWORD dst_unused:UNUSED_PAD src0_sel:WORD_1 src1_sel:DWORD
	v_fma_f16 v7, v66, v11, -v12
	s_waitcnt vmcnt(28)
	v_lshrrev_b32_e32 v8, 16, v25
	v_mul_f16_sdwa v11, v68, v25 dst_sel:DWORD dst_unused:UNUSED_PAD src0_sel:WORD_1 src1_sel:DWORD
	ds_write2st64_b32 v52, v10, v3 offset0:192 offset1:200
	v_pack_b32_f16 v3, v5, v6
	v_fmac_f16_e32 v4, v66, v24
	v_mul_f16_sdwa v5, v68, v8 dst_sel:DWORD dst_unused:UNUSED_PAD src0_sel:WORD_1 src1_sel:DWORD
	v_fma_f16 v6, v68, v8, -v11
	s_waitcnt vmcnt(26)
	v_lshrrev_b32_e32 v8, 16, v26
	v_mul_f16_sdwa v10, v65, v26 dst_sel:DWORD dst_unused:UNUSED_PAD src0_sel:WORD_1 src1_sel:DWORD
	ds_write2st64_b32 v52, v9, v3 offset0:224 offset1:232
	v_pack_b32_f16 v3, v4, v7
	v_fmac_f16_e32 v5, v68, v25
	v_mul_f16_sdwa v4, v65, v8 dst_sel:DWORD dst_unused:UNUSED_PAD src0_sel:WORD_1 src1_sel:DWORD
	s_waitcnt vmcnt(23)
	v_lshrrev_b32_e32 v7, 16, v27
	v_fma_f16 v8, v65, v8, -v10
	v_mul_f16_sdwa v9, v64, v27 dst_sel:DWORD dst_unused:UNUSED_PAD src0_sel:WORD_1 src1_sel:DWORD
	v_pack_b32_f16 v5, v5, v6
	v_fmac_f16_e32 v4, v65, v26
	v_mul_f16_sdwa v6, v64, v7 dst_sel:DWORD dst_unused:UNUSED_PAD src0_sel:WORD_1 src1_sel:DWORD
	s_waitcnt vmcnt(21)
	v_lshrrev_b32_e32 v10, 16, v28
	v_fma_f16 v7, v64, v7, -v9
	v_mul_f16_sdwa v9, v63, v28 dst_sel:DWORD dst_unused:UNUSED_PAD src0_sel:WORD_1 src1_sel:DWORD
	;; [unrolled: 7-line block ×7, first 2 shown]
	v_pack_b32_f16 v10, v10, v12
	v_fmac_f16_e32 v11, v59, v32
	v_mul_f16_sdwa v12, v58, v18 dst_sel:DWORD dst_unused:UNUSED_PAD src0_sel:WORD_1 src1_sel:DWORD
	s_waitcnt vmcnt(10)
	v_lshrrev_b32_e32 v19, 16, v34
	v_mul_f16_sdwa v20, v57, v34 dst_sel:DWORD dst_unused:UNUSED_PAD src0_sel:WORD_1 src1_sel:DWORD
	v_fma_f16 v14, v58, v18, -v14
	v_pack_b32_f16 v11, v11, v13
	v_fmac_f16_e32 v12, v58, v33
	v_mul_f16_sdwa v13, v57, v19 dst_sel:DWORD dst_unused:UNUSED_PAD src0_sel:WORD_1 src1_sel:DWORD
	v_fma_f16 v18, v57, v19, -v20
	s_waitcnt vmcnt(7)
	v_lshrrev_b32_e32 v19, 16, v35
	v_mul_f16_sdwa v20, v56, v35 dst_sel:DWORD dst_unused:UNUSED_PAD src0_sel:WORD_1 src1_sel:DWORD
	ds_write2st64_b32 v52, v3, v11 offset0:16 offset1:24
	v_pack_b32_f16 v3, v12, v14
	v_fmac_f16_e32 v13, v57, v34
	v_mul_f16_sdwa v11, v56, v19 dst_sel:DWORD dst_unused:UNUSED_PAD src0_sel:WORD_1 src1_sel:DWORD
	v_fma_f16 v12, v56, v19, -v20
	s_waitcnt vmcnt(5)
	v_lshrrev_b32_e32 v14, 16, v36
	v_mul_f16_sdwa v19, v55, v36 dst_sel:DWORD dst_unused:UNUSED_PAD src0_sel:WORD_1 src1_sel:DWORD
	ds_write2st64_b32 v52, v5, v3 offset0:48 offset1:56
	v_pack_b32_f16 v3, v13, v18
	s_waitcnt vmcnt(4)
	v_mul_f16_sdwa v18, v51, v37 dst_sel:DWORD dst_unused:UNUSED_PAD src0_sel:WORD_1 src1_sel:DWORD
	v_mul_f16_sdwa v5, v55, v14 dst_sel:DWORD dst_unused:UNUSED_PAD src0_sel:WORD_1 src1_sel:DWORD
	v_fma_f16 v13, v55, v14, -v19
	v_lshrrev_b32_e32 v14, 16, v37
	ds_write2st64_b32 v52, v4, v3 offset0:80 offset1:88
	s_waitcnt vmcnt(3)
	v_lshrrev_b32_e32 v3, 16, v1
	s_waitcnt vmcnt(2)
	v_lshrrev_b32_e32 v19, 16, v2
	s_waitcnt vmcnt(0)
	v_mul_f16_sdwa v21, v53, v2 dst_sel:DWORD dst_unused:UNUSED_PAD src0_sel:WORD_1 src1_sel:DWORD
	v_mul_f16_sdwa v4, v51, v14 dst_sel:DWORD dst_unused:UNUSED_PAD src0_sel:WORD_1 src1_sel:DWORD
	v_fma_f16 v14, v51, v14, -v18
	v_mul_f16_sdwa v18, v54, v1 dst_sel:DWORD dst_unused:UNUSED_PAD src0_sel:WORD_1 src1_sel:DWORD
	v_mul_f16_sdwa v20, v54, v3 dst_sel:DWORD dst_unused:UNUSED_PAD src0_sel:WORD_1 src1_sel:DWORD
	;; [unrolled: 1-line block ×3, first 2 shown]
	v_fmac_f16_e32 v11, v56, v35
	v_fmac_f16_e32 v5, v55, v36
	;; [unrolled: 1-line block ×3, first 2 shown]
	v_fma_f16 v3, v54, v3, -v18
	v_fmac_f16_e32 v20, v54, v1
	v_fma_f16 v1, v53, v19, -v21
	v_fmac_f16_e32 v22, v53, v2
	v_pack_b32_f16 v2, v11, v12
	v_pack_b32_f16 v5, v5, v13
	;; [unrolled: 1-line block ×5, first 2 shown]
	ds_write2st64_b32 v52, v6, v2 offset0:112 offset1:120
	ds_write2st64_b32 v52, v8, v5 offset0:144 offset1:152
	;; [unrolled: 1-line block ×5, first 2 shown]
	s_waitcnt lgkmcnt(0)
	s_barrier
	buffer_gl0_inv
	ds_read2st64_b32 v[18:19], v52 offset1:8
	ds_read2st64_b32 v[20:21], v52 offset0:32 offset1:40
	ds_read2st64_b32 v[22:23], v52 offset0:64 offset1:72
	;; [unrolled: 1-line block ×15, first 2 shown]
	s_waitcnt lgkmcnt(0)
	s_barrier
	buffer_gl0_inv
	v_lshrrev_b32_e32 v36, 16, v18
	v_lshrrev_b32_e32 v37, 16, v20
	;; [unrolled: 1-line block ×8, first 2 shown]
	v_sub_f16_e32 v44, v18, v26
	v_sub_f16_e32 v45, v22, v28
	v_sub_f16_e32 v46, v20, v30
	v_sub_f16_e32 v47, v24, v32
	v_sub_f16_e32 v48, v19, v27
	v_sub_f16_e32 v49, v23, v29
	v_sub_f16_e32 v84, v21, v31
	v_sub_f16_e32 v113, v25, v33
	v_lshrrev_b32_e32 v116, 16, v5
	v_lshrrev_b32_e32 v118, 16, v1
	v_sub_f16_sdwa v26, v36, v26 dst_sel:DWORD dst_unused:UNUSED_PAD src0_sel:DWORD src1_sel:WORD_1
	v_sub_f16_sdwa v28, v38, v28 dst_sel:DWORD dst_unused:UNUSED_PAD src0_sel:DWORD src1_sel:WORD_1
	v_sub_f16_sdwa v30, v37, v30 dst_sel:DWORD dst_unused:UNUSED_PAD src0_sel:DWORD src1_sel:WORD_1
	v_sub_f16_sdwa v32, v39, v32 dst_sel:DWORD dst_unused:UNUSED_PAD src0_sel:DWORD src1_sel:WORD_1
	v_sub_f16_sdwa v27, v40, v27 dst_sel:DWORD dst_unused:UNUSED_PAD src0_sel:DWORD src1_sel:WORD_1
	v_sub_f16_sdwa v29, v42, v29 dst_sel:DWORD dst_unused:UNUSED_PAD src0_sel:DWORD src1_sel:WORD_1
	v_sub_f16_sdwa v31, v41, v31 dst_sel:DWORD dst_unused:UNUSED_PAD src0_sel:DWORD src1_sel:WORD_1
	v_sub_f16_sdwa v33, v43, v33 dst_sel:DWORD dst_unused:UNUSED_PAD src0_sel:DWORD src1_sel:WORD_1
	v_lshrrev_b32_e32 v114, 16, v9
	v_lshrrev_b32_e32 v115, 16, v3
	v_sub_f16_e32 v121, v9, v11
	v_sub_f16_e32 v122, v5, v13
	;; [unrolled: 1-line block ×4, first 2 shown]
	v_fma_f16 v18, v18, 2.0, -v44
	v_fma_f16 v22, v22, 2.0, -v45
	;; [unrolled: 1-line block ×8, first 2 shown]
	v_sub_f16_sdwa v13, v116, v13 dst_sel:DWORD dst_unused:UNUSED_PAD src0_sel:DWORD src1_sel:WORD_1
	v_sub_f16_sdwa v34, v118, v34 dst_sel:DWORD dst_unused:UNUSED_PAD src0_sel:DWORD src1_sel:WORD_1
	v_fma_f16 v36, v36, 2.0, -v26
	v_fma_f16 v38, v38, 2.0, -v28
	;; [unrolled: 1-line block ×4, first 2 shown]
	v_sub_f16_e32 v28, v44, v28
	v_add_f16_e32 v45, v26, v45
	v_sub_f16_e32 v32, v46, v32
	v_add_f16_e32 v47, v30, v47
	v_fma_f16 v40, v40, 2.0, -v27
	v_fma_f16 v42, v42, 2.0, -v29
	;; [unrolled: 1-line block ×4, first 2 shown]
	v_sub_f16_e32 v29, v48, v29
	v_add_f16_e32 v49, v27, v49
	v_sub_f16_e32 v33, v84, v33
	v_add_f16_e32 v113, v31, v113
	v_sub_f16_sdwa v11, v114, v11 dst_sel:DWORD dst_unused:UNUSED_PAD src0_sel:DWORD src1_sel:WORD_1
	v_sub_f16_sdwa v7, v115, v7 dst_sel:DWORD dst_unused:UNUSED_PAD src0_sel:DWORD src1_sel:WORD_1
	v_sub_f16_e32 v22, v18, v22
	v_sub_f16_e32 v24, v20, v24
	;; [unrolled: 1-line block ×4, first 2 shown]
	v_fma_f16 v116, v116, 2.0, -v13
	v_fma_f16 v118, v118, 2.0, -v34
	v_sub_f16_e32 v13, v121, v13
	v_sub_f16_e32 v34, v123, v34
	;; [unrolled: 1-line block ×4, first 2 shown]
	v_fmamk_f16 v128, v32, 0x39a8, v28
	v_fmamk_f16 v129, v47, 0x39a8, v45
	v_sub_f16_e32 v42, v40, v42
	v_sub_f16_e32 v43, v41, v43
	v_fmamk_f16 v131, v113, 0x39a8, v49
	v_fma_f16 v44, v44, 2.0, -v28
	v_fma_f16 v26, v26, 2.0, -v45
	v_fma_f16 v46, v46, 2.0, -v32
	v_fma_f16 v30, v30, 2.0, -v47
	v_fma_f16 v48, v48, 2.0, -v29
	v_fma_f16 v27, v27, 2.0, -v49
	v_fma_f16 v84, v84, 2.0, -v33
	v_fma_f16 v31, v31, 2.0, -v113
	v_add_f16_e32 v126, v11, v122
	v_add_f16_e32 v127, v7, v124
	v_fma_f16 v18, v18, 2.0, -v22
	v_fmamk_f16 v130, v33, 0x39a8, v29
	v_fma_f16 v20, v20, 2.0, -v24
	v_fma_f16 v132, v19, 2.0, -v23
	;; [unrolled: 1-line block ×5, first 2 shown]
	v_sub_f16_e32 v137, v22, v39
	v_add_f16_e32 v24, v38, v24
	v_fmac_f16_e32 v128, 0xb9a8, v47
	v_fmac_f16_e32 v129, 0x39a8, v32
	v_sub_f16_e32 v32, v23, v43
	v_add_f16_e32 v47, v42, v25
	v_fmac_f16_e32 v131, 0x39a8, v33
	v_fma_f16 v33, v36, 2.0, -v38
	v_fma_f16 v25, v37, 2.0, -v39
	v_fmamk_f16 v36, v46, 0xb9a8, v44
	v_fma_f16 v37, v40, 2.0, -v42
	v_fmamk_f16 v39, v30, 0xb9a8, v26
	;; [unrolled: 2-line block ×3, first 2 shown]
	v_fmamk_f16 v43, v31, 0xb9a8, v27
	v_fma_f16 v114, v114, 2.0, -v11
	v_fma_f16 v115, v115, 2.0, -v7
	;; [unrolled: 1-line block ×4, first 2 shown]
	v_fmac_f16_e32 v130, 0xb9a8, v113
	v_sub_f16_e32 v113, v18, v20
	v_fmamk_f16 v138, v19, 0xb9a8, v134
	v_fma_f16 v22, v22, 2.0, -v137
	v_fma_f16 v38, v38, 2.0, -v24
	v_fmac_f16_e32 v36, 0xb9a8, v30
	v_fmac_f16_e32 v39, 0x39a8, v46
	;; [unrolled: 1-line block ×4, first 2 shown]
	v_sub_f16_e32 v30, v33, v25
	v_fmamk_f16 v139, v7, 0xb9a8, v11
	v_fma_f16 v28, v28, 2.0, -v128
	v_fma_f16 v45, v45, 2.0, -v129
	;; [unrolled: 1-line block ×4, first 2 shown]
	v_pack_b32_f16 v20, v137, v24
	v_fma_f16 v31, v18, 2.0, -v113
	v_fmac_f16_e32 v138, 0xb9a8, v7
	v_pack_b32_f16 v24, v22, v38
	v_fma_f16 v7, v44, 2.0, -v36
	v_fma_f16 v22, v26, 2.0, -v39
	;; [unrolled: 1-line block ×5, first 2 shown]
	v_lshrrev_b32_e32 v125, 16, v10
	v_fmamk_f16 v136, v127, 0x39a8, v126
	v_pack_b32_f16 v25, v28, v45
	v_pack_b32_f16 v28, v23, v42
	;; [unrolled: 1-line block ×5, first 2 shown]
	v_lshrrev_b32_e32 v31, 16, v2
	v_lshrrev_b32_e32 v33, 16, v4
	v_fmamk_f16 v135, v34, 0x39a8, v13
	v_fmac_f16_e32 v139, 0x39a8, v19
	v_pack_b32_f16 v19, v36, v39
	v_pack_b32_f16 v18, v113, v30
	v_sub_f16_e32 v7, v10, v12
	v_fmac_f16_e32 v136, 0x39a8, v34
	v_lshrrev_b32_e32 v26, 16, v6
	v_sub_f16_sdwa v12, v125, v12 dst_sel:DWORD dst_unused:UNUSED_PAD src0_sel:DWORD src1_sel:WORD_1
	v_sub_f16_e32 v30, v6, v14
	v_sub_f16_e32 v34, v4, v8
	v_sub_f16_sdwa v36, v31, v35 dst_sel:DWORD dst_unused:UNUSED_PAD src0_sel:DWORD src1_sel:WORD_1
	v_sub_f16_sdwa v8, v33, v8 dst_sel:DWORD dst_unused:UNUSED_PAD src0_sel:DWORD src1_sel:WORD_1
	v_sub_f16_e32 v35, v2, v35
	v_sub_f16_sdwa v14, v26, v14 dst_sel:DWORD dst_unused:UNUSED_PAD src0_sel:DWORD src1_sel:WORD_1
	v_fma_f16 v6, v6, 2.0, -v30
	v_add_f16_e32 v30, v12, v30
	v_fma_f16 v9, v9, 2.0, -v121
	v_add_f16_e32 v42, v8, v35
	v_fma_f16 v5, v5, 2.0, -v122
	v_fma_f16 v3, v3, 2.0, -v123
	;; [unrolled: 1-line block ×3, first 2 shown]
	v_sub_f16_e32 v38, v7, v14
	v_sub_f16_e32 v39, v34, v36
	v_fma_f16 v44, v12, 2.0, -v30
	v_fma_f16 v45, v8, 2.0, -v42
	;; [unrolled: 1-line block ×6, first 2 shown]
	v_sub_f16_e32 v5, v9, v5
	v_sub_f16_e32 v1, v3, v1
	v_fma_f16 v10, v10, 2.0, -v7
	v_fma_f16 v4, v4, 2.0, -v34
	;; [unrolled: 1-line block ×5, first 2 shown]
	v_fmamk_f16 v46, v45, 0xb9a8, v44
	v_sub_f16_e32 v33, v114, v116
	v_sub_f16_e32 v14, v12, v14
	;; [unrolled: 1-line block ×3, first 2 shown]
	v_fma_f16 v29, v29, 2.0, -v130
	v_fma_f16 v49, v49, 2.0, -v131
	;; [unrolled: 1-line block ×4, first 2 shown]
	v_sub_f16_e32 v48, v132, v133
	v_sub_f16_e32 v40, v37, v40
	v_fmamk_f16 v35, v34, 0xb9a8, v7
	v_fmac_f16_e32 v46, 0x39a8, v34
	v_sub_f16_e32 v34, v115, v118
	v_sub_f16_e32 v6, v10, v6
	;; [unrolled: 1-line block ×3, first 2 shown]
	v_add_f16_e32 v84, v33, v1
	v_fma_f16 v1, v12, 2.0, -v14
	v_fma_f16 v8, v8, 2.0, -v26
	v_fmac_f16_e32 v135, 0xb9a8, v127
	v_fmamk_f16 v31, v39, 0x39a8, v38
	v_pack_b32_f16 v29, v29, v49
	v_sub_f16_e32 v49, v9, v3
	v_fma_f16 v3, v132, 2.0, -v48
	v_fma_f16 v37, v37, 2.0, -v40
	v_fmac_f16_e32 v35, 0xb9a8, v45
	v_fma_f16 v36, v114, 2.0, -v33
	v_fma_f16 v45, v115, 2.0, -v34
	;; [unrolled: 1-line block ×5, first 2 shown]
	v_sub_f16_e32 v33, v1, v8
	v_fmac_f16_e32 v31, 0xb9a8, v42
	v_fmamk_f16 v42, v42, 0x39a8, v30
	v_fma_f16 v13, v13, 2.0, -v135
	v_fma_f16 v8, v126, 2.0, -v136
	v_lshlrev_b32_e32 v113, 5, v0
	v_pack_b32_f16 v21, v128, v129
	v_sub_f16_e32 v122, v6, v26
	v_pack_b32_f16 v26, v3, v37
	v_sub_f16_e32 v45, v36, v45
	v_sub_f16_e32 v34, v5, v34
	;; [unrolled: 1-line block ×3, first 2 shown]
	v_add_f16_e32 v123, v14, v2
	v_fma_f16 v124, v1, 2.0, -v33
	v_pack_b32_f16 v4, v130, v131
	v_pack_b32_f16 v3, v32, v47
	v_lshlrev_b32_e32 v114, 5, v15
	v_pack_b32_f16 v2, v41, v43
	v_pack_b32_f16 v1, v48, v40
	v_fmac_f16_e32 v42, 0x39a8, v39
	ds_write_b128 v113, v[22:25]
	ds_write_b128 v113, v[18:21] offset:16
	ds_write_b128 v113, v[26:29] offset:16384
	;; [unrolled: 1-line block ×3, first 2 shown]
	v_pack_b32_f16 v4, v13, v8
	v_and_b32_e32 v13, 7, v0
	v_fma_f16 v9, v9, 2.0, -v49
	v_fma_f16 v36, v36, 2.0, -v45
	;; [unrolled: 1-line block ×12, first 2 shown]
	v_mad_u64_u32 v[20:21], null, v13, 60, s[10:11]
	v_pack_b32_f16 v3, v5, v12
	v_pack_b32_f16 v2, v39, v11
	;; [unrolled: 1-line block ×3, first 2 shown]
	v_lshlrev_b32_e32 v115, 5, v16
	v_pack_b32_f16 v8, v135, v136
	v_pack_b32_f16 v7, v34, v84
	;; [unrolled: 1-line block ×8, first 2 shown]
	v_lshlrev_b32_e32 v116, 5, v17
	v_pack_b32_f16 v19, v31, v42
	v_pack_b32_f16 v18, v122, v123
	;; [unrolled: 1-line block ×4, first 2 shown]
	ds_write_b128 v113, v[1:4] offset:32768
	ds_write_b128 v115, v[5:8] offset:16
	;; [unrolled: 1-line block ×4, first 2 shown]
	s_waitcnt lgkmcnt(0)
	s_barrier
	buffer_gl0_inv
	s_clause 0x3
	global_load_dwordx4 v[9:12], v[20:21], off
	global_load_dwordx4 v[5:8], v[20:21], off offset:16
	global_load_dwordx4 v[1:4], v[20:21], off offset:32
	global_load_dwordx3 v[17:19], v[20:21], off offset:48
	ds_read2st64_b32 v[20:21], v52 offset0:16 offset1:24
	ds_read2st64_b32 v[22:23], v52 offset0:32 offset1:40
	;; [unrolled: 1-line block ×15, first 2 shown]
	ds_read2st64_b32 v[123:124], v52 offset1:8
	v_lshlrev_b32_e32 v44, 4, v0
	s_waitcnt vmcnt(0) lgkmcnt(0)
	s_barrier
	buffer_gl0_inv
	v_lshlrev_b32_e32 v15, 4, v15
	v_and_or_b32 v14, 0x1f80, v44, v13
	v_lshrrev_b32_e32 v16, 16, v22
	v_lshrrev_b32_e32 v49, 16, v24
	;; [unrolled: 1-line block ×4, first 2 shown]
	v_lshlrev_b32_e32 v84, 2, v14
	v_lshrrev_b32_e32 v14, 16, v20
	v_lshrrev_b32_e32 v128, 16, v34
	;; [unrolled: 1-line block ×12, first 2 shown]
	v_and_or_b32 v13, 0x3f80, v15, v13
	v_mul_f16_sdwa v138, v20, v9 dst_sel:DWORD dst_unused:UNUSED_PAD src0_sel:DWORD src1_sel:WORD_1
	v_mul_f16_sdwa v140, v22, v10 dst_sel:DWORD dst_unused:UNUSED_PAD src0_sel:DWORD src1_sel:WORD_1
	;; [unrolled: 1-line block ×15, first 2 shown]
	v_fmac_f16_e32 v138, v14, v9
	v_mul_f16_sdwa v14, v40, v3 dst_sel:DWORD dst_unused:UNUSED_PAD src0_sel:DWORD src1_sel:WORD_1
	v_fmac_f16_e32 v140, v16, v10
	v_mul_f16_sdwa v16, v129, v1 dst_sel:DWORD dst_unused:UNUSED_PAD src0_sel:DWORD src1_sel:WORD_1
	;; [unrolled: 2-line block ×5, first 2 shown]
	v_mul_f16_sdwa v143, v118, v12 dst_sel:DWORD dst_unused:UNUSED_PAD src0_sel:DWORD src1_sel:WORD_1
	v_mul_f16_sdwa v147, v126, v6 dst_sel:DWORD dst_unused:UNUSED_PAD src0_sel:DWORD src1_sel:WORD_1
	;; [unrolled: 1-line block ×3, first 2 shown]
	v_fmac_f16_e32 v144, v118, v12
	v_mul_f16_sdwa v118, v131, v3 dst_sel:DWORD dst_unused:UNUSED_PAD src0_sel:DWORD src1_sel:WORD_1
	v_fmac_f16_e32 v148, v126, v6
	v_mul_f16_sdwa v126, v132, v4 dst_sel:DWORD dst_unused:UNUSED_PAD src0_sel:DWORD src1_sel:WORD_1
	;; [unrolled: 2-line block ×7, first 2 shown]
	v_fmac_f16_e32 v129, v134, v18
	v_fma_f16 v22, v22, v10, -v139
	v_fma_f16 v34, v34, v8, -v153
	;; [unrolled: 1-line block ×4, first 2 shown]
	v_fmac_f16_e32 v127, v133, v17
	v_fmac_f16_e32 v131, v135, v19
	v_fma_f16 v20, v20, v9, -v137
	v_fma_f16 v24, v24, v11, -v141
	;; [unrolled: 1-line block ×10, first 2 shown]
	v_sub_f16_e32 v34, v123, v34
	v_sub_f16_e32 v118, v144, v125
	;; [unrolled: 1-line block ×4, first 2 shown]
	v_fma_f16 v28, v28, v5, -v145
	v_sub_f16_e32 v49, v136, v150
	v_sub_f16_e32 v40, v26, v40
	;; [unrolled: 1-line block ×10, first 2 shown]
	v_fma_f16 v130, v144, 2.0, -v118
	v_fma_f16 v132, v148, 2.0, -v125
	v_sub_f16_e32 v118, v34, v118
	v_sub_f16_e32 v125, v36, v125
	;; [unrolled: 1-line block ×4, first 2 shown]
	v_fma_f16 v129, v136, 2.0, -v49
	v_fma_f16 v26, v26, 2.0, -v40
	;; [unrolled: 1-line block ×10, first 2 shown]
	v_add_f16_e32 v40, v49, v40
	v_add_f16_e32 v45, v121, v45
	v_sub_f16_e32 v127, v16, v127
	v_sub_f16_e32 v128, v38, v128
	v_fmamk_f16 v137, v125, 0x39a8, v118
	v_fma_f16 v22, v22, 2.0, -v36
	v_fma_f16 v20, v20, 2.0, -v16
	;; [unrolled: 1-line block ×4, first 2 shown]
	v_add_f16_e32 v42, v126, v42
	v_add_f16_e32 v47, v14, v47
	v_sub_f16_e32 v26, v123, v26
	v_sub_f16_e32 v132, v131, v132
	;; [unrolled: 1-line block ×4, first 2 shown]
	v_fmamk_f16 v138, v45, 0x39a8, v40
	v_fma_f16 v121, v121, 2.0, -v45
	v_fmac_f16_e32 v137, 0xb9a8, v45
	v_fmamk_f16 v45, v128, 0x39a8, v127
	v_fma_f16 v36, v36, 2.0, -v125
	v_fma_f16 v34, v34, 2.0, -v118
	v_sub_f16_e32 v28, v20, v28
	v_sub_f16_e32 v136, v135, v136
	v_fmac_f16_e32 v138, 0x39a8, v125
	v_fmamk_f16 v125, v47, 0x39a8, v42
	v_fma_f16 v49, v49, 2.0, -v40
	v_fma_f16 v16, v16, 2.0, -v127
	;; [unrolled: 1-line block ×4, first 2 shown]
	v_fmac_f16_e32 v45, 0xb9a8, v47
	v_sub_f16_e32 v47, v26, v132
	v_fma_f16 v131, v131, 2.0, -v132
	v_add_f16_e32 v132, v134, v32
	v_fma_f16 v24, v24, 2.0, -v32
	v_fmamk_f16 v32, v36, 0xb9a8, v34
	v_sub_f16_e32 v130, v129, v130
	v_sub_f16_e32 v30, v22, v30
	v_fma_f16 v126, v126, 2.0, -v42
	v_fmac_f16_e32 v125, 0x39a8, v128
	v_sub_f16_e32 v128, v28, v136
	v_fma_f16 v135, v135, 2.0, -v136
	v_fmamk_f16 v136, v121, 0xb9a8, v49
	v_fmac_f16_e32 v32, 0xb9a8, v121
	v_fmamk_f16 v121, v38, 0xb9a8, v16
	v_fma_f16 v22, v22, 2.0, -v30
	v_add_f16_e32 v30, v130, v30
	v_fma_f16 v123, v123, 2.0, -v26
	v_fma_f16 v20, v20, 2.0, -v28
	v_fmac_f16_e32 v136, 0x39a8, v36
	v_fmamk_f16 v36, v14, 0xb9a8, v126
	v_fma_f16 v26, v26, 2.0, -v47
	v_fma_f16 v28, v28, 2.0, -v128
	v_fmac_f16_e32 v121, 0xb9a8, v14
	v_fmamk_f16 v14, v128, 0x39a8, v47
	v_fma_f16 v129, v129, 2.0, -v130
	v_fma_f16 v133, v133, 2.0, -v134
	;; [unrolled: 1-line block ×6, first 2 shown]
	v_fmac_f16_e32 v36, 0x39a8, v38
	v_fmamk_f16 v38, v132, 0x39a8, v30
	v_fmac_f16_e32 v14, 0xb9a8, v132
	v_fmamk_f16 v132, v28, 0xb9a8, v26
	v_fma_f16 v42, v42, 2.0, -v125
	v_fma_f16 v40, v40, 2.0, -v138
	v_fmac_f16_e32 v38, 0x39a8, v128
	v_fmamk_f16 v128, v134, 0xb9a8, v130
	v_fmac_f16_e32 v132, 0xb9a8, v134
	v_fmamk_f16 v134, v127, 0xb61f, v118
	v_sub_f16_e32 v22, v123, v22
	v_sub_f16_e32 v131, v129, v131
	;; [unrolled: 1-line block ×4, first 2 shown]
	v_fmac_f16_e32 v128, 0x39a8, v28
	v_fmamk_f16 v28, v42, 0xb61f, v40
	v_fmac_f16_e32 v134, 0xbb64, v42
	v_fmamk_f16 v42, v121, 0x361f, v32
	v_fma_f16 v34, v34, 2.0, -v32
	v_fma_f16 v16, v16, 2.0, -v121
	v_fma_f16 v133, v133, 2.0, -v135
	v_sub_f16_e32 v135, v22, v135
	v_fma_f16 v20, v20, 2.0, -v24
	v_add_f16_e32 v24, v131, v24
	v_fmac_f16_e32 v28, 0x3b64, v127
	v_fmamk_f16 v127, v36, 0x361f, v136
	v_fma_f16 v49, v49, 2.0, -v136
	v_fma_f16 v126, v126, 2.0, -v36
	v_fmac_f16_e32 v42, 0xbb64, v36
	v_fmamk_f16 v36, v16, 0xbb64, v34
	v_fma_f16 v123, v123, 2.0, -v22
	v_fma_f16 v129, v129, 2.0, -v131
	;; [unrolled: 1-line block ×4, first 2 shown]
	v_fmac_f16_e32 v36, 0xb61f, v126
	v_fmamk_f16 v126, v126, 0xbb64, v49
	v_fmac_f16_e32 v127, 0x3b64, v121
	v_fmamk_f16 v121, v45, 0x3b64, v137
	v_pack_b32_f16 v22, v22, v131
	v_fmamk_f16 v131, v125, 0x3b64, v138
	v_sub_f16_e32 v20, v123, v20
	v_sub_f16_e32 v133, v129, v133
	v_fmac_f16_e32 v126, 0x361f, v16
	v_fma_f16 v118, v118, 2.0, -v134
	v_fma_f16 v40, v40, 2.0, -v28
	v_fmac_f16_e32 v121, 0xb61f, v125
	v_fmac_f16_e32 v131, 0x361f, v45
	v_fma_f16 v26, v26, 2.0, -v132
	v_fma_f16 v130, v130, 2.0, -v128
	;; [unrolled: 1-line block ×8, first 2 shown]
	v_pack_b32_f16 v40, v118, v40
	v_fma_f16 v47, v47, 2.0, -v14
	v_fma_f16 v30, v30, 2.0, -v38
	;; [unrolled: 1-line block ×4, first 2 shown]
	v_pack_b32_f16 v26, v26, v130
	v_pack_b32_f16 v32, v32, v136
	v_pack_b32_f16 v16, v16, v123
	v_pack_b32_f16 v34, v34, v45
	v_pack_b32_f16 v30, v47, v30
	v_pack_b32_f16 v45, v49, v118
	v_pack_b32_f16 v20, v20, v133
	v_pack_b32_f16 v36, v36, v126
	ds_write2_b32 v84, v26, v40 offset0:16 offset1:24
	ds_write2_b32 v84, v22, v32 offset0:32 offset1:40
	ds_write2_b32 v84, v16, v34 offset1:8
	ds_write2_b32 v84, v30, v45 offset0:48 offset1:56
	ds_write2_b32 v84, v20, v36 offset0:64 offset1:72
	v_lshrrev_b32_e32 v20, 16, v21
	v_pack_b32_f16 v24, v135, v24
	v_pack_b32_f16 v26, v42, v127
	;; [unrolled: 1-line block ×4, first 2 shown]
	v_mul_f16_sdwa v30, v20, v9 dst_sel:DWORD dst_unused:UNUSED_PAD src0_sel:DWORD src1_sel:WORD_1
	v_lshrrev_b32_e32 v28, 16, v23
	ds_write2_b32 v84, v24, v26 offset0:96 offset1:104
	v_lshrrev_b32_e32 v26, 16, v27
	ds_write2_b32 v84, v16, v22 offset0:80 offset1:88
	v_fma_f16 v24, v21, v9, -v30
	v_lshrrev_b32_e32 v30, 16, v29
	v_lshrrev_b32_e32 v16, 16, v25
	v_mul_f16_sdwa v22, v28, v10 dst_sel:DWORD dst_unused:UNUSED_PAD src0_sel:DWORD src1_sel:WORD_1
	v_mul_f16_sdwa v34, v26, v12 dst_sel:DWORD dst_unused:UNUSED_PAD src0_sel:DWORD src1_sel:WORD_1
	v_lshrrev_b32_e32 v42, 16, v39
	v_mul_f16_sdwa v36, v30, v5 dst_sel:DWORD dst_unused:UNUSED_PAD src0_sel:DWORD src1_sel:WORD_1
	v_mul_f16_sdwa v32, v16, v11 dst_sel:DWORD dst_unused:UNUSED_PAD src0_sel:DWORD src1_sel:WORD_1
	v_fma_f16 v22, v23, v10, -v22
	v_mul_f16_sdwa v23, v23, v10 dst_sel:DWORD dst_unused:UNUSED_PAD src0_sel:DWORD src1_sel:WORD_1
	v_mul_f16_sdwa v21, v21, v9 dst_sel:DWORD dst_unused:UNUSED_PAD src0_sel:DWORD src1_sel:WORD_1
	v_fma_f16 v36, v29, v5, -v36
	v_mul_f16_sdwa v29, v29, v5 dst_sel:DWORD dst_unused:UNUSED_PAD src0_sel:DWORD src1_sel:WORD_1
	v_fma_f16 v32, v25, v11, -v32
	;; [unrolled: 2-line block ×3, first 2 shown]
	v_mul_f16_sdwa v27, v27, v12 dst_sel:DWORD dst_unused:UNUSED_PAD src0_sel:DWORD src1_sel:WORD_1
	v_fmac_f16_e32 v29, v30, v5
	v_lshrrev_b32_e32 v30, 16, v37
	v_fmac_f16_e32 v25, v16, v11
	v_lshrrev_b32_e32 v16, 16, v33
	v_lshrrev_b32_e32 v40, 16, v31
	v_fmac_f16_e32 v23, v28, v10
	v_mul_f16_sdwa v47, v30, v1 dst_sel:DWORD dst_unused:UNUSED_PAD src0_sel:DWORD src1_sel:WORD_1
	v_mul_f16_sdwa v49, v42, v2 dst_sel:DWORD dst_unused:UNUSED_PAD src0_sel:DWORD src1_sel:WORD_1
	;; [unrolled: 1-line block ×3, first 2 shown]
	v_fmac_f16_e32 v21, v20, v9
	v_mul_f16_sdwa v20, v40, v6 dst_sel:DWORD dst_unused:UNUSED_PAD src0_sel:DWORD src1_sel:WORD_1
	v_fma_f16 v47, v37, v1, -v47
	v_mul_f16_sdwa v37, v37, v1 dst_sel:DWORD dst_unused:UNUSED_PAD src0_sel:DWORD src1_sel:WORD_1
	v_fmac_f16_e32 v27, v26, v12
	v_lshrrev_b32_e32 v26, 16, v35
	v_fma_f16 v28, v33, v7, -v28
	v_mul_f16_sdwa v33, v33, v7 dst_sel:DWORD dst_unused:UNUSED_PAD src0_sel:DWORD src1_sel:WORD_1
	v_fma_f16 v49, v39, v2, -v49
	v_mul_f16_sdwa v39, v39, v2 dst_sel:DWORD dst_unused:UNUSED_PAD src0_sel:DWORD src1_sel:WORD_1
	v_fmac_f16_e32 v37, v30, v1
	v_lshrrev_b32_e32 v30, 16, v46
	v_fma_f16 v20, v31, v6, -v20
	v_mul_f16_sdwa v31, v31, v6 dst_sel:DWORD dst_unused:UNUSED_PAD src0_sel:DWORD src1_sel:WORD_1
	v_mul_f16_sdwa v45, v26, v8 dst_sel:DWORD dst_unused:UNUSED_PAD src0_sel:DWORD src1_sel:WORD_1
	v_fmac_f16_e32 v33, v16, v7
	v_lshrrev_b32_e32 v16, 16, v43
	v_fmac_f16_e32 v39, v42, v2
	v_lshrrev_b32_e32 v42, 16, v48
	v_mul_f16_sdwa v125, v30, v17 dst_sel:DWORD dst_unused:UNUSED_PAD src0_sel:DWORD src1_sel:WORD_1
	v_fma_f16 v45, v35, v8, -v45
	v_mul_f16_sdwa v35, v35, v8 dst_sel:DWORD dst_unused:UNUSED_PAD src0_sel:DWORD src1_sel:WORD_1
	v_fmac_f16_e32 v31, v40, v6
	v_mul_f16_sdwa v40, v16, v4 dst_sel:DWORD dst_unused:UNUSED_PAD src0_sel:DWORD src1_sel:WORD_1
	v_mul_f16_sdwa v126, v42, v18 dst_sel:DWORD dst_unused:UNUSED_PAD src0_sel:DWORD src1_sel:WORD_1
	v_fma_f16 v125, v46, v17, -v125
	v_mul_f16_sdwa v46, v46, v17 dst_sel:DWORD dst_unused:UNUSED_PAD src0_sel:DWORD src1_sel:WORD_1
	v_lshrrev_b32_e32 v118, 16, v41
	v_fmac_f16_e32 v35, v26, v8
	v_lshrrev_b32_e32 v123, 16, v122
	v_fma_f16 v40, v43, v4, -v40
	v_mul_f16_sdwa v43, v43, v4 dst_sel:DWORD dst_unused:UNUSED_PAD src0_sel:DWORD src1_sel:WORD_1
	v_fma_f16 v126, v48, v18, -v126
	v_mul_f16_sdwa v48, v48, v18 dst_sel:DWORD dst_unused:UNUSED_PAD src0_sel:DWORD src1_sel:WORD_1
	v_fmac_f16_e32 v46, v30, v17
	v_lshrrev_b32_e32 v30, 16, v124
	v_mul_f16_sdwa v26, v118, v3 dst_sel:DWORD dst_unused:UNUSED_PAD src0_sel:DWORD src1_sel:WORD_1
	v_mul_f16_sdwa v127, v123, v19 dst_sel:DWORD dst_unused:UNUSED_PAD src0_sel:DWORD src1_sel:WORD_1
	v_fmac_f16_e32 v43, v16, v4
	v_sub_f16_e32 v16, v124, v45
	v_fmac_f16_e32 v48, v42, v18
	v_sub_f16_e32 v40, v34, v40
	v_sub_f16_e32 v35, v30, v35
	;; [unrolled: 1-line block ×5, first 2 shown]
	v_fma_f16 v26, v41, v3, -v26
	v_mul_f16_sdwa v41, v41, v3 dst_sel:DWORD dst_unused:UNUSED_PAD src0_sel:DWORD src1_sel:WORD_1
	v_fma_f16 v127, v122, v19, -v127
	v_mul_f16_sdwa v122, v122, v19 dst_sel:DWORD dst_unused:UNUSED_PAD src0_sel:DWORD src1_sel:WORD_1
	v_fma_f16 v42, v124, 2.0, -v16
	v_sub_f16_e32 v43, v27, v43
	v_sub_f16_e32 v48, v31, v48
	v_fma_f16 v34, v34, 2.0, -v40
	v_add_f16_e32 v40, v35, v40
	v_add_f16_e32 v124, v39, v49
	v_fmac_f16_e32 v41, v118, v3
	v_fmac_f16_e32 v122, v123, v19
	v_sub_f16_e32 v118, v16, v43
	v_sub_f16_e32 v123, v45, v48
	v_fma_f16 v126, v35, 2.0, -v40
	v_fma_f16 v128, v39, 2.0, -v124
	v_fma_f16 v27, v27, 2.0, -v43
	v_fma_f16 v16, v16, 2.0, -v118
	v_fma_f16 v43, v45, 2.0, -v123
	v_fma_f16 v31, v31, 2.0, -v48
	v_fma_f16 v20, v20, 2.0, -v49
	v_fmamk_f16 v48, v128, 0xb9a8, v126
	v_fmamk_f16 v49, v123, 0x39a8, v118
	v_fma_f16 v23, v23, 2.0, -v39
	v_sub_f16_e32 v39, v24, v47
	v_sub_f16_e32 v46, v29, v46
	;; [unrolled: 1-line block ×4, first 2 shown]
	v_fma_f16 v22, v22, 2.0, -v45
	v_fmamk_f16 v45, v43, 0xb9a8, v16
	v_fma_f16 v30, v30, 2.0, -v35
	v_fmac_f16_e32 v48, 0x39a8, v43
	v_fmac_f16_e32 v49, 0xb9a8, v124
	v_fmamk_f16 v35, v124, 0x39a8, v40
	v_sub_f16_e32 v43, v36, v125
	v_sub_f16_e32 v37, v21, v37
	;; [unrolled: 1-line block ×6, first 2 shown]
	v_fmac_f16_e32 v45, 0xb9a8, v128
	v_fmac_f16_e32 v35, 0x39a8, v123
	v_add_f16_e32 v123, v37, v43
	v_add_f16_e32 v127, v41, v122
	v_fma_f16 v128, v39, 2.0, -v124
	v_fma_f16 v129, v26, 2.0, -v125
	;; [unrolled: 1-line block ×6, first 2 shown]
	v_fmamk_f16 v43, v129, 0xb9a8, v128
	v_fma_f16 v26, v32, 2.0, -v26
	v_fma_f16 v29, v29, 2.0, -v46
	v_fmamk_f16 v32, v130, 0xb9a8, v39
	v_fma_f16 v33, v33, 2.0, -v47
	v_fmac_f16_e32 v43, 0xb9a8, v130
	v_fma_f16 v28, v28, 2.0, -v122
	v_fma_f16 v21, v21, 2.0, -v37
	v_fmac_f16_e32 v32, 0x39a8, v129
	v_fma_f16 v16, v16, 2.0, -v45
	v_fma_f16 v37, v128, 2.0, -v43
	;; [unrolled: 1-line block ×5, first 2 shown]
	v_sub_f16_e32 v34, v42, v34
	v_fmamk_f16 v126, v37, 0xbb64, v16
	v_sub_f16_e32 v20, v22, v20
	v_sub_f16_e32 v31, v23, v31
	;; [unrolled: 1-line block ×7, first 2 shown]
	v_fmamk_f16 v46, v125, 0x39a8, v124
	v_fmamk_f16 v41, v39, 0xbb64, v47
	v_fmac_f16_e32 v126, 0xb61f, v39
	v_fma_f16 v22, v22, 2.0, -v20
	v_fma_f16 v23, v23, 2.0, -v31
	v_sub_f16_e32 v31, v34, v31
	v_fma_f16 v25, v25, 2.0, -v33
	v_sub_f16_e32 v33, v36, v33
	v_add_f16_e32 v20, v27, v20
	v_add_f16_e32 v39, v29, v28
	v_fmamk_f16 v122, v127, 0x39a8, v123
	v_fmac_f16_e32 v46, 0xb9a8, v127
	v_fmac_f16_e32 v41, 0x361f, v37
	v_fma_f16 v37, v42, 2.0, -v34
	v_fma_f16 v24, v24, 2.0, -v36
	;; [unrolled: 1-line block ×7, first 2 shown]
	v_fmac_f16_e32 v122, 0x39a8, v125
	v_fma_f16 v118, v118, 2.0, -v49
	v_fma_f16 v124, v124, 2.0, -v46
	;; [unrolled: 1-line block ×4, first 2 shown]
	v_fmamk_f16 v125, v42, 0xb9a8, v36
	v_fma_f16 v123, v123, 2.0, -v122
	v_fmamk_f16 v127, v124, 0xb61f, v118
	v_fma_f16 v40, v40, 2.0, -v35
	v_fmamk_f16 v128, v39, 0x39a8, v20
	v_sub_f16_e32 v22, v37, v22
	v_sub_f16_e32 v23, v27, v23
	;; [unrolled: 1-line block ×4, first 2 shown]
	v_fmamk_f16 v30, v34, 0xb9a8, v28
	v_fmac_f16_e32 v125, 0x39a8, v34
	v_fmamk_f16 v34, v43, 0x361f, v45
	v_fmac_f16_e32 v127, 0xbb64, v123
	v_fmamk_f16 v29, v123, 0xb61f, v40
	v_fmamk_f16 v123, v33, 0x39a8, v31
	v_fmac_f16_e32 v128, 0x39a8, v33
	v_fma_f16 v33, v37, 2.0, -v22
	v_fma_f16 v27, v27, 2.0, -v23
	;; [unrolled: 1-line block ×4, first 2 shown]
	v_fmac_f16_e32 v30, 0xb9a8, v42
	v_fmamk_f16 v42, v32, 0x361f, v48
	v_fmac_f16_e32 v34, 0xbb64, v32
	v_fmamk_f16 v32, v46, 0x3b64, v49
	v_fmamk_f16 v37, v122, 0x3b64, v35
	v_sub_f16_e32 v24, v33, v24
	v_sub_f16_e32 v21, v27, v21
	v_fmac_f16_e32 v29, 0x3b64, v124
	v_fmac_f16_e32 v42, 0x3b64, v43
	v_sub_f16_e32 v25, v22, v25
	v_add_f16_e32 v26, v23, v26
	v_fmac_f16_e32 v123, 0xb9a8, v39
	v_fmac_f16_e32 v32, 0xb61f, v122
	;; [unrolled: 1-line block ×3, first 2 shown]
	v_fma_f16 v15, v33, 2.0, -v24
	v_fma_f16 v27, v27, 2.0, -v21
	;; [unrolled: 1-line block ×4, first 2 shown]
	v_pack_b32_f16 v14, v14, v38
	v_fma_f16 v28, v28, 2.0, -v30
	v_fma_f16 v36, v36, 2.0, -v125
	;; [unrolled: 1-line block ×12, first 2 shown]
	v_pack_b32_f16 v46, v121, v131
	v_lshlrev_b32_e32 v122, 2, v13
	v_pack_b32_f16 v13, v15, v27
	v_pack_b32_f16 v15, v16, v33
	;; [unrolled: 1-line block ×8, first 2 shown]
	ds_write2_b32 v84, v14, v46 offset0:112 offset1:120
	ds_write2_b32 v122, v13, v15 offset1:8
	ds_write2_b32 v122, v16, v27 offset0:16 offset1:24
	ds_write2_b32 v122, v22, v23 offset0:32 offset1:40
	;; [unrolled: 1-line block ×3, first 2 shown]
	v_and_b32_e32 v13, 0x7f, v0
	v_pack_b32_f16 v16, v24, v21
	v_pack_b32_f16 v20, v126, v41
	;; [unrolled: 1-line block ×4, first 2 shown]
	v_mad_u64_u32 v[14:15], null, v13, 12, s[10:11]
	v_pack_b32_f16 v23, v25, v26
	v_pack_b32_f16 v24, v34, v42
	v_pack_b32_f16 v25, v123, v128
	v_pack_b32_f16 v26, v32, v37
	ds_write2_b32 v122, v16, v20 offset0:64 offset1:72
	ds_write2_b32 v122, v21, v22 offset0:80 offset1:88
	;; [unrolled: 1-line block ×4, first 2 shown]
	s_waitcnt lgkmcnt(0)
	s_barrier
	buffer_gl0_inv
	global_load_dwordx3 v[20:22], v[14:15], off offset:480
	ds_read2st64_b32 v[14:15], v52 offset0:64 offset1:72
	ds_read2st64_b32 v[23:24], v52 offset0:128 offset1:136
	;; [unrolled: 1-line block ×3, first 2 shown]
	ds_read2st64_b32 v[27:28], v52 offset1:8
	v_and_or_b32 v16, 0x600, v52, v13
	ds_read2st64_b32 v[29:30], v52 offset0:16 offset1:24
	ds_read2st64_b32 v[31:32], v52 offset0:80 offset1:88
	;; [unrolled: 1-line block ×11, first 2 shown]
	v_lshlrev_b32_e32 v118, 2, v16
	s_waitcnt lgkmcnt(14)
	v_lshrrev_b32_e32 v16, 16, v14
	s_waitcnt lgkmcnt(13)
	v_lshrrev_b32_e32 v43, 16, v23
	;; [unrolled: 2-line block ×3, first 2 shown]
	v_lshrrev_b32_e32 v121, 16, v15
	v_lshrrev_b32_e32 v123, 16, v24
	;; [unrolled: 1-line block ×3, first 2 shown]
	s_waitcnt lgkmcnt(11)
	v_lshrrev_b32_e32 v129, 16, v27
	v_lshrrev_b32_e32 v130, 16, v28
	s_waitcnt vmcnt(0)
	v_mul_f16_sdwa v131, v16, v20 dst_sel:DWORD dst_unused:UNUSED_PAD src0_sel:DWORD src1_sel:WORD_1
	v_mul_f16_sdwa v132, v14, v20 dst_sel:DWORD dst_unused:UNUSED_PAD src0_sel:DWORD src1_sel:WORD_1
	;; [unrolled: 1-line block ×10, first 2 shown]
	v_fma_f16 v14, v14, v20, -v131
	v_fma_f16 v131, v15, v20, -v134
	;; [unrolled: 1-line block ×3, first 2 shown]
	v_fmac_f16_e32 v132, v16, v20
	v_fma_f16 v16, v25, v22, -v136
	v_fmac_f16_e32 v135, v43, v21
	v_fmac_f16_e32 v141, v49, v22
	v_mul_f16_sdwa v139, v24, v21 dst_sel:DWORD dst_unused:UNUSED_PAD src0_sel:DWORD src1_sel:WORD_1
	v_mul_f16_sdwa v142, v26, v22 dst_sel:DWORD dst_unused:UNUSED_PAD src0_sel:DWORD src1_sel:WORD_1
	v_fma_f16 v23, v24, v21, -v137
	v_fma_f16 v24, v26, v22, -v140
	v_sub_f16_e32 v15, v27, v15
	v_sub_f16_e32 v25, v129, v135
	;; [unrolled: 1-line block ×4, first 2 shown]
	v_fmac_f16_e32 v138, v121, v20
	v_fmac_f16_e32 v139, v123, v21
	;; [unrolled: 1-line block ×3, first 2 shown]
	v_fma_f16 v14, v14, 2.0, -v16
	v_fma_f16 v49, v132, 2.0, -v26
	v_sub_f16_e32 v26, v15, v26
	v_add_f16_e32 v16, v25, v16
	v_sub_f16_e32 v23, v28, v23
	v_fma_f16 v27, v27, 2.0, -v15
	v_fma_f16 v43, v129, 2.0, -v25
	v_sub_f16_e32 v24, v131, v24
	v_pack_b32_f16 v123, v26, v16
	v_fma_f16 v16, v25, 2.0, -v16
	v_sub_f16_e32 v25, v130, v139
	v_sub_f16_e32 v124, v138, v142
	v_fma_f16 v28, v28, 2.0, -v23
	v_sub_f16_e32 v121, v27, v14
	v_sub_f16_e32 v49, v43, v49
	v_fma_f16 v129, v130, 2.0, -v25
	v_fma_f16 v130, v131, 2.0, -v24
	;; [unrolled: 1-line block ×6, first 2 shown]
	v_sub_f16_e32 v130, v28, v130
	v_sub_f16_e32 v131, v129, v131
	v_pack_b32_f16 v49, v121, v49
	v_pack_b32_f16 v16, v26, v16
	;; [unrolled: 1-line block ×3, first 2 shown]
	v_fma_f16 v27, v28, 2.0, -v130
	v_fma_f16 v28, v129, 2.0, -v131
	ds_read2st64_b32 v[14:15], v52 offset0:240 offset1:248
	s_waitcnt lgkmcnt(0)
	s_barrier
	buffer_gl0_inv
	ds_write2st64_b32 v118, v49, v123 offset0:4 offset1:6
	ds_write2st64_b32 v118, v26, v16 offset1:2
	v_pack_b32_f16 v16, v27, v28
	v_lshrrev_b32_e32 v26, 16, v31
	v_mul_f16_sdwa v27, v31, v20 dst_sel:DWORD dst_unused:UNUSED_PAD src0_sel:DWORD src1_sel:WORD_1
	v_lshrrev_b32_e32 v28, 16, v33
	v_mul_f16_sdwa v49, v33, v21 dst_sel:DWORD dst_unused:UNUSED_PAD src0_sel:DWORD src1_sel:WORD_1
	v_lshrrev_b32_e32 v121, 16, v35
	v_sub_f16_e32 v43, v23, v124
	v_fmac_f16_e32 v27, v26, v20
	v_mul_f16_sdwa v26, v26, v20 dst_sel:DWORD dst_unused:UNUSED_PAD src0_sel:DWORD src1_sel:WORD_1
	v_fmac_f16_e32 v49, v28, v21
	v_mul_f16_sdwa v123, v121, v22 dst_sel:DWORD dst_unused:UNUSED_PAD src0_sel:DWORD src1_sel:WORD_1
	v_mul_f16_sdwa v28, v28, v21 dst_sel:DWORD dst_unused:UNUSED_PAD src0_sel:DWORD src1_sel:WORD_1
	v_add_f16_e32 v24, v25, v24
	v_mul_f16_sdwa v124, v35, v22 dst_sel:DWORD dst_unused:UNUSED_PAD src0_sel:DWORD src1_sel:WORD_1
	v_fma_f16 v26, v31, v20, -v26
	v_fma_f16 v35, v35, v22, -v123
	;; [unrolled: 1-line block ×3, first 2 shown]
	v_fma_f16 v23, v23, 2.0, -v43
	v_fma_f16 v25, v25, 2.0, -v24
	v_lshrrev_b32_e32 v31, 16, v29
	v_fmac_f16_e32 v124, v121, v22
	v_sub_f16_e32 v33, v26, v35
	v_sub_f16_e32 v28, v29, v28
	v_pack_b32_f16 v23, v23, v25
	v_sub_f16_e32 v25, v31, v49
	v_sub_f16_e32 v35, v27, v124
	v_and_or_b32 v49, 0xe00, v111, v13
	v_fma_f16 v26, v26, 2.0, -v33
	v_fma_f16 v29, v29, 2.0, -v28
	;; [unrolled: 1-line block ×4, first 2 shown]
	v_lshlrev_b32_e32 v121, 2, v49
	v_pack_b32_f16 v123, v130, v131
	v_sub_f16_e32 v26, v29, v26
	v_pack_b32_f16 v24, v43, v24
	v_sub_f16_e32 v27, v31, v27
	v_lshrrev_b32_e32 v43, 16, v32
	ds_write2st64_b32 v121, v16, v23 offset1:2
	ds_write2st64_b32 v121, v123, v24 offset0:4 offset1:6
	v_fma_f16 v16, v29, 2.0, -v26
	v_lshrrev_b32_e32 v29, 16, v34
	v_fma_f16 v23, v31, 2.0, -v27
	v_mul_f16_sdwa v24, v43, v20 dst_sel:DWORD dst_unused:UNUSED_PAD src0_sel:DWORD src1_sel:WORD_1
	v_sub_f16_e32 v31, v28, v35
	v_lshrrev_b32_e32 v35, 16, v36
	v_mul_f16_sdwa v49, v29, v21 dst_sel:DWORD dst_unused:UNUSED_PAD src0_sel:DWORD src1_sel:WORD_1
	v_mul_f16_sdwa v124, v34, v21 dst_sel:DWORD dst_unused:UNUSED_PAD src0_sel:DWORD src1_sel:WORD_1
	v_fma_f16 v24, v32, v20, -v24
	v_mul_f16_sdwa v32, v32, v20 dst_sel:DWORD dst_unused:UNUSED_PAD src0_sel:DWORD src1_sel:WORD_1
	v_mul_f16_sdwa v123, v35, v22 dst_sel:DWORD dst_unused:UNUSED_PAD src0_sel:DWORD src1_sel:WORD_1
	v_fma_f16 v34, v34, v21, -v49
	v_mul_f16_sdwa v49, v36, v22 dst_sel:DWORD dst_unused:UNUSED_PAD src0_sel:DWORD src1_sel:WORD_1
	v_fmac_f16_e32 v124, v29, v21
	v_lshrrev_b32_e32 v29, 16, v30
	v_fma_f16 v36, v36, v22, -v123
	v_fmac_f16_e32 v32, v43, v20
	v_fmac_f16_e32 v49, v35, v22
	v_add_f16_e32 v33, v25, v33
	v_sub_f16_e32 v34, v30, v34
	v_sub_f16_e32 v35, v29, v124
	;; [unrolled: 1-line block ×4, first 2 shown]
	v_fma_f16 v28, v28, 2.0, -v31
	v_fma_f16 v25, v25, 2.0, -v33
	v_and_or_b32 v49, 0x1600, v89, v13
	v_fma_f16 v30, v30, 2.0, -v34
	v_fma_f16 v29, v29, 2.0, -v35
	;; [unrolled: 1-line block ×4, first 2 shown]
	v_pack_b32_f16 v16, v16, v23
	v_pack_b32_f16 v23, v28, v25
	v_lshlrev_b32_e32 v123, 2, v49
	v_sub_f16_e32 v24, v30, v24
	v_sub_f16_e32 v25, v29, v32
	;; [unrolled: 1-line block ×3, first 2 shown]
	v_add_f16_e32 v32, v35, v36
	v_pack_b32_f16 v26, v26, v27
	v_pack_b32_f16 v31, v31, v33
	ds_write2st64_b32 v123, v16, v23 offset1:2
	v_fma_f16 v16, v30, 2.0, -v24
	v_fma_f16 v23, v29, 2.0, -v25
	;; [unrolled: 1-line block ×4, first 2 shown]
	v_and_or_b32 v27, 0x1e00, v107, v13
	v_lshrrev_b32_e32 v33, 16, v39
	ds_write2st64_b32 v123, v26, v31 offset0:4 offset1:6
	v_mul_f16_sdwa v26, v39, v20 dst_sel:DWORD dst_unused:UNUSED_PAD src0_sel:DWORD src1_sel:WORD_1
	v_pack_b32_f16 v16, v16, v23
	v_lshlrev_b32_e32 v124, 2, v27
	v_pack_b32_f16 v27, v29, v30
	v_lshrrev_b32_e32 v29, 16, v40
	v_mul_f16_sdwa v30, v33, v20 dst_sel:DWORD dst_unused:UNUSED_PAD src0_sel:DWORD src1_sel:WORD_1
	v_fmac_f16_e32 v26, v33, v20
	v_mul_f16_sdwa v33, v40, v20 dst_sel:DWORD dst_unused:UNUSED_PAD src0_sel:DWORD src1_sel:WORD_1
	v_lshrrev_b32_e32 v23, 16, v41
	ds_write2st64_b32 v124, v16, v27 offset1:2
	v_mul_f16_sdwa v16, v29, v20 dst_sel:DWORD dst_unused:UNUSED_PAD src0_sel:DWORD src1_sel:WORD_1
	v_lshrrev_b32_e32 v27, 16, v42
	v_fmac_f16_e32 v33, v29, v20
	v_lshrrev_b32_e32 v29, 16, v45
	v_mul_f16_sdwa v31, v41, v21 dst_sel:DWORD dst_unused:UNUSED_PAD src0_sel:DWORD src1_sel:WORD_1
	v_fma_f16 v30, v39, v20, -v30
	v_fma_f16 v16, v40, v20, -v16
	v_mul_f16_sdwa v34, v23, v21 dst_sel:DWORD dst_unused:UNUSED_PAD src0_sel:DWORD src1_sel:WORD_1
	v_lshrrev_b32_e32 v35, 16, v46
	v_mul_f16_sdwa v39, v42, v21 dst_sel:DWORD dst_unused:UNUSED_PAD src0_sel:DWORD src1_sel:WORD_1
	v_mul_f16_sdwa v40, v29, v22 dst_sel:DWORD dst_unused:UNUSED_PAD src0_sel:DWORD src1_sel:WORD_1
	v_fmac_f16_e32 v31, v23, v21
	v_mul_f16_sdwa v23, v27, v21 dst_sel:DWORD dst_unused:UNUSED_PAD src0_sel:DWORD src1_sel:WORD_1
	v_fma_f16 v34, v41, v21, -v34
	v_mul_f16_sdwa v36, v45, v22 dst_sel:DWORD dst_unused:UNUSED_PAD src0_sel:DWORD src1_sel:WORD_1
	v_mul_f16_sdwa v41, v35, v22 dst_sel:DWORD dst_unused:UNUSED_PAD src0_sel:DWORD src1_sel:WORD_1
	v_fmac_f16_e32 v39, v27, v21
	v_fma_f16 v27, v45, v22, -v40
	v_mul_f16_sdwa v40, v46, v22 dst_sel:DWORD dst_unused:UNUSED_PAD src0_sel:DWORD src1_sel:WORD_1
	v_fmac_f16_e32 v36, v29, v22
	v_fma_f16 v29, v46, v22, -v41
	v_pack_b32_f16 v24, v24, v25
	v_pack_b32_f16 v25, v28, v32
	v_lshrrev_b32_e32 v28, 16, v125
	v_fmac_f16_e32 v40, v35, v22
	v_mul_f16_sdwa v35, v125, v20 dst_sel:DWORD dst_unused:UNUSED_PAD src0_sel:DWORD src1_sel:WORD_1
	v_lshrrev_b32_e32 v41, 16, v127
	v_lshrrev_b32_e32 v32, 16, v126
	ds_write2st64_b32 v124, v24, v25 offset0:4 offset1:6
	v_mul_f16_sdwa v24, v28, v20 dst_sel:DWORD dst_unused:UNUSED_PAD src0_sel:DWORD src1_sel:WORD_1
	v_fmac_f16_e32 v35, v28, v20
	v_mul_f16_sdwa v28, v41, v21 dst_sel:DWORD dst_unused:UNUSED_PAD src0_sel:DWORD src1_sel:WORD_1
	v_mul_f16_sdwa v49, v126, v20 dst_sel:DWORD dst_unused:UNUSED_PAD src0_sel:DWORD src1_sel:WORD_1
	;; [unrolled: 1-line block ×3, first 2 shown]
	v_fma_f16 v23, v42, v21, -v23
	v_sub_f16_e32 v27, v30, v27
	v_fma_f16 v28, v127, v21, -v28
	v_mul_f16_sdwa v127, v127, v21 dst_sel:DWORD dst_unused:UNUSED_PAD src0_sel:DWORD src1_sel:WORD_1
	v_fmac_f16_e32 v49, v32, v20
	v_sub_f16_e32 v32, v37, v34
	v_lshrrev_b32_e32 v34, 16, v37
	v_sub_f16_e32 v36, v26, v36
	v_fmac_f16_e32 v127, v41, v21
	v_lshrrev_b32_e32 v41, 16, v38
	v_lshrrev_b32_e32 v42, 16, v128
	v_sub_f16_e32 v31, v34, v31
	v_lshrrev_b32_e32 v45, 16, v14
	v_sub_f16_e32 v23, v38, v23
	v_fma_f16 v37, v37, 2.0, -v32
	v_fma_f16 v30, v30, 2.0, -v27
	;; [unrolled: 1-line block ×4, first 2 shown]
	v_sub_f16_e32 v39, v41, v39
	v_sub_f16_e32 v29, v16, v29
	;; [unrolled: 1-line block ×3, first 2 shown]
	v_fma_f16 v24, v125, v20, -v24
	v_mul_f16_sdwa v43, v42, v21 dst_sel:DWORD dst_unused:UNUSED_PAD src0_sel:DWORD src1_sel:WORD_1
	v_lshrrev_b32_e32 v46, 16, v15
	v_mul_f16_sdwa v125, v45, v22 dst_sel:DWORD dst_unused:UNUSED_PAD src0_sel:DWORD src1_sel:WORD_1
	v_fma_f16 v38, v38, 2.0, -v23
	v_sub_f16_e32 v30, v37, v30
	v_sub_f16_e32 v26, v34, v26
	v_fma_f16 v41, v41, 2.0, -v39
	v_fma_f16 v16, v16, 2.0, -v29
	;; [unrolled: 1-line block ×3, first 2 shown]
	v_fma_f16 v25, v126, v20, -v25
	v_fma_f16 v43, v128, v21, -v43
	v_mul_f16_sdwa v126, v46, v22 dst_sel:DWORD dst_unused:UNUSED_PAD src0_sel:DWORD src1_sel:WORD_1
	v_mul_f16_sdwa v128, v128, v21 dst_sel:DWORD dst_unused:UNUSED_PAD src0_sel:DWORD src1_sel:WORD_1
	;; [unrolled: 1-line block ×3, first 2 shown]
	v_fma_f16 v14, v14, v22, -v125
	v_fma_f16 v37, v37, 2.0, -v30
	v_sub_f16_e32 v36, v32, v36
	v_add_f16_e32 v27, v31, v27
	v_fma_f16 v34, v34, 2.0, -v26
	v_sub_f16_e32 v16, v38, v16
	v_sub_f16_e32 v33, v41, v33
	v_fma_f16 v125, v15, v22, -v126
	v_mul_f16_sdwa v15, v15, v22 dst_sel:DWORD dst_unused:UNUSED_PAD src0_sel:DWORD src1_sel:WORD_1
	v_fmac_f16_e32 v128, v42, v21
	v_sub_f16_e32 v28, v47, v28
	v_sub_f16_e32 v42, v48, v43
	v_lshrrev_b32_e32 v43, 16, v47
	v_fma_f16 v32, v32, 2.0, -v36
	v_fma_f16 v31, v31, 2.0, -v27
	v_pack_b32_f16 v34, v37, v34
	v_fma_f16 v37, v38, 2.0, -v16
	v_fma_f16 v38, v41, 2.0, -v33
	v_sub_f16_e32 v14, v24, v14
	v_fmac_f16_e32 v129, v45, v22
	v_fmac_f16_e32 v15, v46, v22
	v_lshrrev_b32_e32 v45, 16, v48
	v_fma_f16 v46, v47, 2.0, -v28
	v_pack_b32_f16 v31, v32, v31
	v_pack_b32_f16 v26, v30, v26
	;; [unrolled: 1-line block ×3, first 2 shown]
	v_sub_f16_e32 v32, v43, v127
	v_fma_f16 v24, v24, 2.0, -v14
	v_sub_f16_e32 v37, v23, v40
	v_add_f16_e32 v29, v39, v29
	v_pack_b32_f16 v27, v36, v27
	v_sub_f16_e32 v36, v35, v129
	v_fma_f16 v38, v43, 2.0, -v32
	v_sub_f16_e32 v24, v46, v24
	v_fma_f16 v23, v23, 2.0, -v37
	v_fma_f16 v39, v39, 2.0, -v29
	v_sub_f16_e32 v40, v25, v125
	v_sub_f16_e32 v43, v45, v128
	v_sub_f16_e32 v15, v49, v15
	v_fma_f16 v35, v35, 2.0, -v36
	v_fma_f16 v47, v48, 2.0, -v42
	;; [unrolled: 1-line block ×6, first 2 shown]
	v_pack_b32_f16 v23, v23, v39
	v_and_or_b32 v39, 0x2600, v105, v13
	v_pack_b32_f16 v16, v16, v33
	v_and_or_b32 v33, 0x2e00, v106, v13
	v_sub_f16_e32 v35, v38, v35
	v_sub_f16_e32 v36, v28, v36
	v_add_f16_e32 v14, v32, v14
	v_sub_f16_e32 v25, v47, v25
	v_sub_f16_e32 v46, v45, v46
	;; [unrolled: 1-line block ×3, first 2 shown]
	v_add_f16_e32 v40, v43, v40
	v_lshlrev_b32_e32 v127, 2, v39
	v_lshlrev_b32_e32 v125, 2, v33
	v_fma_f16 v38, v38, 2.0, -v35
	v_fma_f16 v28, v28, 2.0, -v36
	;; [unrolled: 1-line block ×3, first 2 shown]
	v_pack_b32_f16 v29, v37, v29
	v_and_or_b32 v33, 0x3600, v88, v13
	v_fma_f16 v47, v47, 2.0, -v25
	v_fma_f16 v45, v45, 2.0, -v46
	;; [unrolled: 1-line block ×4, first 2 shown]
	ds_write2st64_b32 v127, v34, v31 offset1:2
	ds_write2st64_b32 v127, v26, v27 offset0:4 offset1:6
	ds_write2st64_b32 v125, v30, v23 offset1:2
	ds_write2st64_b32 v125, v16, v29 offset0:4 offset1:6
	v_and_or_b32 v13, 0x3e00, v108, v13
	v_mad_u64_u32 v[26:27], null, v0, 28, s[10:11]
	v_lshlrev_b32_e32 v126, 2, v33
	v_pack_b32_f16 v16, v41, v38
	v_pack_b32_f16 v23, v28, v32
	;; [unrolled: 1-line block ×4, first 2 shown]
	v_lshlrev_b32_e32 v128, 2, v13
	v_pack_b32_f16 v13, v47, v45
	v_pack_b32_f16 v28, v42, v39
	;; [unrolled: 1-line block ×4, first 2 shown]
	ds_write2st64_b32 v126, v16, v23 offset1:2
	ds_write2st64_b32 v126, v24, v14 offset0:4 offset1:6
	ds_write2st64_b32 v128, v13, v28 offset1:2
	ds_write2st64_b32 v128, v25, v15 offset0:4 offset1:6
	s_waitcnt lgkmcnt(0)
	s_barrier
	buffer_gl0_inv
	s_clause 0x1
	global_load_dwordx4 v[13:16], v[26:27], off offset:2016
	global_load_dwordx3 v[23:25], v[26:27], off offset:2032
	ds_read2st64_b32 v[38:39], v52 offset0:32 offset1:40
	ds_read2st64_b32 v[36:37], v52 offset0:64 offset1:72
	;; [unrolled: 1-line block ×7, first 2 shown]
	ds_read2st64_b32 v[42:43], v52 offset1:8
	v_sub_co_u32 v44, vcc_lo, v26, v44
	s_waitcnt lgkmcnt(7)
	v_lshrrev_b32_e32 v45, 16, v38
	s_waitcnt lgkmcnt(6)
	v_lshrrev_b32_e32 v46, 16, v36
	;; [unrolled: 2-line block ×8, first 2 shown]
	v_lshrrev_b32_e32 v147, 16, v41
	s_waitcnt vmcnt(1)
	v_mul_f16_sdwa v132, v38, v13 dst_sel:DWORD dst_unused:UNUSED_PAD src0_sel:DWORD src1_sel:WORD_1
	v_mul_f16_sdwa v133, v36, v14 dst_sel:DWORD dst_unused:UNUSED_PAD src0_sel:DWORD src1_sel:WORD_1
	;; [unrolled: 1-line block ×7, first 2 shown]
	s_waitcnt vmcnt(0)
	v_mul_f16_sdwa v139, v32, v23 dst_sel:DWORD dst_unused:UNUSED_PAD src0_sel:DWORD src1_sel:WORD_1
	v_mul_f16_sdwa v140, v34, v24 dst_sel:DWORD dst_unused:UNUSED_PAD src0_sel:DWORD src1_sel:WORD_1
	;; [unrolled: 1-line block ×7, first 2 shown]
	v_fmac_f16_e32 v132, v45, v13
	v_fmac_f16_e32 v133, v46, v14
	;; [unrolled: 1-line block ×7, first 2 shown]
	v_fma_f16 v38, v38, v13, -v135
	v_fma_f16 v36, v36, v14, -v136
	;; [unrolled: 1-line block ×7, first 2 shown]
	v_sub_f16_e32 v28, v42, v28
	v_sub_f16_e32 v45, v131, v138
	;; [unrolled: 1-line block ×8, first 2 shown]
	v_fma_f16 v49, v131, 2.0, -v45
	v_fma_f16 v36, v36, 2.0, -v34
	;; [unrolled: 1-line block ×6, first 2 shown]
	v_add_f16_e32 v34, v45, v34
	v_sub_f16_e32 v139, v32, v48
	v_add_f16_e32 v40, v47, v40
	v_sub_f16_e32 v141, v28, v46
	v_fma_f16 v42, v42, 2.0, -v28
	v_fma_f16 v46, v132, 2.0, -v47
	;; [unrolled: 1-line block ×5, first 2 shown]
	v_sub_f16_e32 v36, v42, v36
	v_sub_f16_e32 v142, v49, v129
	v_sub_f16_e32 v30, v38, v30
	v_sub_f16_e32 v140, v46, v130
	v_fma_f16 v28, v28, 2.0, -v141
	v_fma_f16 v42, v42, 2.0, -v36
	;; [unrolled: 1-line block ×5, first 2 shown]
	v_fmamk_f16 v143, v32, 0xb9a8, v28
	v_fmamk_f16 v144, v47, 0xb9a8, v131
	v_sub_f16_e32 v146, v36, v140
	v_sub_f16_e32 v38, v42, v38
	;; [unrolled: 1-line block ×3, first 2 shown]
	v_fmac_f16_e32 v143, 0xb9a8, v47
	v_fmac_f16_e32 v144, 0x39a8, v32
	v_add_f16_e32 v30, v142, v30
	v_fma_f16 v32, v42, 2.0, -v38
	v_fma_f16 v42, v49, 2.0, -v145
	;; [unrolled: 1-line block ×5, first 2 shown]
	ds_read2st64_b32 v[45:46], v52 offset0:16 offset1:24
	v_pack_b32_f16 v32, v32, v42
	v_fmamk_f16 v42, v139, 0x39a8, v141
	v_pack_b32_f16 v28, v28, v49
	v_fmamk_f16 v49, v40, 0x39a8, v34
	ds_read2st64_b32 v[47:48], v52 offset0:48 offset1:56
	ds_read2st64_b32 v[129:130], v52 offset0:80 offset1:88
	ds_read2st64_b32 v[131:132], v52 offset0:112 offset1:120
	ds_read2st64_b32 v[133:134], v52 offset0:144 offset1:152
	v_fmac_f16_e32 v42, 0xb9a8, v40
	v_fma_f16 v40, v142, 2.0, -v30
	v_fmac_f16_e32 v49, 0x39a8, v139
	ds_read2st64_b32 v[135:136], v52 offset0:176 offset1:184
	ds_read2st64_b32 v[137:138], v52 offset0:208 offset1:216
	v_fma_f16 v141, v141, 2.0, -v42
	v_pack_b32_f16 v36, v36, v40
	v_fma_f16 v34, v34, 2.0, -v49
	v_lshrrev_b32_e32 v40, 16, v39
	ds_read2st64_b32 v[139:140], v52 offset0:240 offset1:248
	s_waitcnt lgkmcnt(0)
	s_barrier
	v_pack_b32_f16 v34, v141, v34
	buffer_gl0_inv
	ds_write2st64_b32 v52, v32, v28 offset1:8
	v_lshrrev_b32_e32 v28, 16, v37
	v_mul_f16_sdwa v32, v40, v13 dst_sel:DWORD dst_unused:UNUSED_PAD src0_sel:DWORD src1_sel:WORD_1
	ds_write2st64_b32 v52, v36, v34 offset0:16 offset1:24
	v_pack_b32_f16 v34, v38, v145
	v_lshrrev_b32_e32 v36, 16, v31
	v_mul_f16_sdwa v38, v28, v14 dst_sel:DWORD dst_unused:UNUSED_PAD src0_sel:DWORD src1_sel:WORD_1
	v_fma_f16 v32, v39, v13, -v32
	v_mul_f16_sdwa v39, v39, v13 dst_sel:DWORD dst_unused:UNUSED_PAD src0_sel:DWORD src1_sel:WORD_1
	v_mul_f16_sdwa v141, v37, v14 dst_sel:DWORD dst_unused:UNUSED_PAD src0_sel:DWORD src1_sel:WORD_1
	;; [unrolled: 1-line block ×3, first 2 shown]
	v_fma_f16 v37, v37, v14, -v38
	v_lshrrev_b32_e32 v38, 16, v29
	v_fmac_f16_e32 v39, v40, v13
	v_lshrrev_b32_e32 v40, 16, v33
	v_lshrrev_b32_e32 v145, 16, v35
	v_fmac_f16_e32 v141, v28, v14
	v_fma_f16 v28, v31, v15, -v142
	v_mul_f16_sdwa v142, v38, v16 dst_sel:DWORD dst_unused:UNUSED_PAD src0_sel:DWORD src1_sel:WORD_1
	v_mul_f16_sdwa v148, v40, v23 dst_sel:DWORD dst_unused:UNUSED_PAD src0_sel:DWORD src1_sel:WORD_1
	;; [unrolled: 1-line block ×5, first 2 shown]
	v_fma_f16 v142, v29, v16, -v142
	v_mul_f16_sdwa v29, v29, v16 dst_sel:DWORD dst_unused:UNUSED_PAD src0_sel:DWORD src1_sel:WORD_1
	v_fma_f16 v148, v33, v23, -v148
	v_mul_f16_sdwa v33, v33, v23 dst_sel:DWORD dst_unused:UNUSED_PAD src0_sel:DWORD src1_sel:WORD_1
	;; [unrolled: 2-line block ×4, first 2 shown]
	v_fmac_f16_e32 v31, v36, v15
	v_fmac_f16_e32 v29, v38, v16
	;; [unrolled: 1-line block ×4, first 2 shown]
	v_lshrrev_b32_e32 v38, 16, v43
	v_fmac_f16_e32 v41, v147, v25
	v_sub_f16_e32 v36, v43, v142
	v_sub_f16_e32 v40, v37, v149
	;; [unrolled: 1-line block ×8, first 2 shown]
	v_fma_f16 v43, v43, 2.0, -v36
	v_fma_f16 v37, v37, 2.0, -v40
	;; [unrolled: 1-line block ×4, first 2 shown]
	v_sub_f16_e32 v35, v36, v35
	v_fma_f16 v31, v31, 2.0, -v41
	v_sub_f16_e32 v41, v142, v41
	v_fma_f16 v28, v28, 2.0, -v145
	v_fma_f16 v38, v38, 2.0, -v29
	v_add_f16_e32 v40, v29, v40
	v_fma_f16 v39, v39, 2.0, -v33
	v_add_f16_e32 v145, v33, v145
	v_fma_f16 v36, v36, 2.0, -v35
	v_sub_f16_e32 v37, v43, v37
	v_sub_f16_e32 v141, v38, v141
	;; [unrolled: 1-line block ×4, first 2 shown]
	v_fma_f16 v142, v142, 2.0, -v41
	v_fma_f16 v29, v29, 2.0, -v40
	;; [unrolled: 1-line block ×7, first 2 shown]
	v_fmamk_f16 v147, v142, 0xb9a8, v36
	v_pack_b32_f16 v143, v143, v144
	v_fmamk_f16 v144, v33, 0xb9a8, v29
	v_sub_f16_e32 v32, v43, v32
	v_sub_f16_e32 v39, v38, v39
	v_fmac_f16_e32 v147, 0xb9a8, v33
	v_sub_f16_e32 v31, v37, v31
	v_fmac_f16_e32 v144, 0x39a8, v142
	v_fma_f16 v43, v43, 2.0, -v32
	v_fma_f16 v38, v38, 2.0, -v39
	;; [unrolled: 1-line block ×3, first 2 shown]
	v_add_f16_e32 v28, v141, v28
	v_fma_f16 v29, v29, 2.0, -v144
	v_pack_b32_f16 v33, v42, v49
	v_pack_b32_f16 v38, v43, v38
	v_fmamk_f16 v42, v41, 0x39a8, v35
	v_fmamk_f16 v43, v145, 0x39a8, v40
	v_pack_b32_f16 v29, v36, v29
	v_fma_f16 v36, v37, 2.0, -v31
	v_fma_f16 v37, v141, 2.0, -v28
	v_pack_b32_f16 v30, v146, v30
	v_fmac_f16_e32 v42, 0xb9a8, v145
	v_fmac_f16_e32 v43, 0x39a8, v41
	ds_write2st64_b32 v52, v34, v143 offset0:32 offset1:40
	ds_write2st64_b32 v52, v30, v33 offset0:48 offset1:56
	;; [unrolled: 1-line block ×3, first 2 shown]
	v_pack_b32_f16 v29, v36, v37
	v_lshrrev_b32_e32 v33, 16, v47
	v_mul_f16_sdwa v34, v47, v13 dst_sel:DWORD dst_unused:UNUSED_PAD src0_sel:DWORD src1_sel:WORD_1
	v_lshrrev_b32_e32 v36, 16, v129
	v_mul_f16_sdwa v37, v129, v14 dst_sel:DWORD dst_unused:UNUSED_PAD src0_sel:DWORD src1_sel:WORD_1
	v_fma_f16 v35, v35, 2.0, -v42
	v_fma_f16 v40, v40, 2.0, -v43
	v_pack_b32_f16 v32, v32, v39
	v_pack_b32_f16 v28, v31, v28
	;; [unrolled: 1-line block ×3, first 2 shown]
	v_fmac_f16_e32 v34, v33, v13
	v_mul_f16_sdwa v33, v33, v13 dst_sel:DWORD dst_unused:UNUSED_PAD src0_sel:DWORD src1_sel:WORD_1
	v_lshrrev_b32_e32 v38, 16, v131
	v_mul_f16_sdwa v39, v131, v15 dst_sel:DWORD dst_unused:UNUSED_PAD src0_sel:DWORD src1_sel:WORD_1
	v_fmac_f16_e32 v37, v36, v14
	v_mul_f16_sdwa v36, v36, v14 dst_sel:DWORD dst_unused:UNUSED_PAD src0_sel:DWORD src1_sel:WORD_1
	v_lshrrev_b32_e32 v42, 16, v137
	v_mul_f16_sdwa v43, v137, v24 dst_sel:DWORD dst_unused:UNUSED_PAD src0_sel:DWORD src1_sel:WORD_1
	v_pack_b32_f16 v30, v35, v40
	v_lshrrev_b32_e32 v40, 16, v133
	v_mul_f16_sdwa v41, v133, v16 dst_sel:DWORD dst_unused:UNUSED_PAD src0_sel:DWORD src1_sel:WORD_1
	v_fmac_f16_e32 v39, v38, v15
	v_mul_f16_sdwa v38, v38, v15 dst_sel:DWORD dst_unused:UNUSED_PAD src0_sel:DWORD src1_sel:WORD_1
	v_fma_f16 v33, v47, v13, -v33
	v_fma_f16 v36, v129, v14, -v36
	v_lshrrev_b32_e32 v47, 16, v135
	v_mul_f16_sdwa v49, v135, v23 dst_sel:DWORD dst_unused:UNUSED_PAD src0_sel:DWORD src1_sel:WORD_1
	v_fmac_f16_e32 v43, v42, v24
	v_mul_f16_sdwa v42, v42, v24 dst_sel:DWORD dst_unused:UNUSED_PAD src0_sel:DWORD src1_sel:WORD_1
	v_lshrrev_b32_e32 v129, 16, v139
	v_fmac_f16_e32 v41, v40, v16
	v_mul_f16_sdwa v40, v40, v16 dst_sel:DWORD dst_unused:UNUSED_PAD src0_sel:DWORD src1_sel:WORD_1
	v_fma_f16 v38, v131, v15, -v38
	v_fmac_f16_e32 v49, v47, v23
	v_mul_f16_sdwa v131, v139, v25 dst_sel:DWORD dst_unused:UNUSED_PAD src0_sel:DWORD src1_sel:WORD_1
	v_mul_f16_sdwa v47, v47, v23 dst_sel:DWORD dst_unused:UNUSED_PAD src0_sel:DWORD src1_sel:WORD_1
	v_fma_f16 v42, v137, v24, -v42
	v_mul_f16_sdwa v137, v129, v25 dst_sel:DWORD dst_unused:UNUSED_PAD src0_sel:DWORD src1_sel:WORD_1
	v_fma_f16 v40, v133, v16, -v40
	v_fmac_f16_e32 v131, v129, v25
	v_fma_f16 v47, v135, v23, -v47
	v_lshrrev_b32_e32 v133, 16, v45
	v_fma_f16 v129, v139, v25, -v137
	v_sub_f16_e32 v42, v36, v42
	v_sub_f16_e32 v40, v45, v40
	v_sub_f16_e32 v47, v33, v47
	v_sub_f16_e32 v41, v133, v41
	v_sub_f16_e32 v129, v38, v129
	v_fma_f16 v36, v36, 2.0, -v42
	v_sub_f16_e32 v49, v34, v49
	v_fma_f16 v33, v33, 2.0, -v47
	v_fma_f16 v45, v45, 2.0, -v40
	;; [unrolled: 1-line block ×3, first 2 shown]
	v_sub_f16_e32 v43, v37, v43
	v_sub_f16_e32 v131, v39, v131
	v_add_f16_e32 v42, v41, v42
	v_add_f16_e32 v129, v49, v129
	v_sub_f16_e32 v36, v45, v36
	v_sub_f16_e32 v38, v33, v38
	v_fma_f16 v133, v133, 2.0, -v41
	v_fma_f16 v37, v37, 2.0, -v43
	;; [unrolled: 1-line block ×3, first 2 shown]
	v_sub_f16_e32 v131, v47, v131
	v_sub_f16_e32 v43, v40, v43
	v_fma_f16 v34, v34, 2.0, -v49
	v_fma_f16 v41, v41, 2.0, -v42
	;; [unrolled: 1-line block ×5, first 2 shown]
	v_pack_b32_f16 v35, v147, v144
	v_fma_f16 v47, v47, 2.0, -v131
	v_sub_f16_e32 v37, v133, v37
	v_sub_f16_e32 v39, v34, v39
	v_fma_f16 v40, v40, 2.0, -v43
	ds_write2st64_b32 v52, v29, v30 offset0:80 offset1:88
	v_fmamk_f16 v30, v49, 0xb9a8, v41
	v_sub_f16_e32 v33, v45, v33
	v_fma_f16 v133, v133, 2.0, -v37
	v_fma_f16 v34, v34, 2.0, -v39
	v_fmamk_f16 v29, v47, 0xb9a8, v40
	ds_write2st64_b32 v52, v32, v35 offset0:96 offset1:104
	v_fmac_f16_e32 v30, 0x39a8, v47
	v_fma_f16 v32, v45, 2.0, -v33
	v_fmamk_f16 v45, v131, 0x39a8, v43
	v_fmamk_f16 v47, v129, 0x39a8, v42
	v_sub_f16_e32 v34, v133, v34
	v_fmac_f16_e32 v29, 0xb9a8, v49
	v_sub_f16_e32 v39, v36, v39
	v_add_f16_e32 v38, v37, v38
	v_fmac_f16_e32 v45, 0xb9a8, v129
	v_fmac_f16_e32 v47, 0x39a8, v131
	v_fma_f16 v35, v133, 2.0, -v34
	v_fma_f16 v40, v40, 2.0, -v29
	;; [unrolled: 1-line block ×7, first 2 shown]
	ds_write2st64_b32 v52, v28, v31 offset0:112 offset1:120
	v_pack_b32_f16 v28, v32, v35
	v_pack_b32_f16 v31, v40, v41
	;; [unrolled: 1-line block ×6, first 2 shown]
	ds_write2st64_b32 v52, v28, v31 offset0:128 offset1:136
	ds_write2st64_b32 v52, v32, v35 offset0:144 offset1:152
	;; [unrolled: 1-line block ×3, first 2 shown]
	v_lshrrev_b32_e32 v29, 16, v132
	v_lshrrev_b32_e32 v28, 16, v130
	v_mul_f16_sdwa v33, v130, v14 dst_sel:DWORD dst_unused:UNUSED_PAD src0_sel:DWORD src1_sel:WORD_1
	v_lshrrev_b32_e32 v36, 16, v48
	v_mul_f16_sdwa v32, v48, v13 dst_sel:DWORD dst_unused:UNUSED_PAD src0_sel:DWORD src1_sel:WORD_1
	v_mul_f16_sdwa v34, v29, v15 dst_sel:DWORD dst_unused:UNUSED_PAD src0_sel:DWORD src1_sel:WORD_1
	;; [unrolled: 1-line block ×3, first 2 shown]
	v_lshrrev_b32_e32 v35, 16, v134
	v_fmac_f16_e32 v33, v28, v14
	v_mul_f16_sdwa v30, v36, v13 dst_sel:DWORD dst_unused:UNUSED_PAD src0_sel:DWORD src1_sel:WORD_1
	v_fma_f16 v28, v132, v15, -v34
	v_lshrrev_b32_e32 v34, 16, v136
	v_fma_f16 v31, v130, v14, -v31
	v_fmac_f16_e32 v32, v36, v13
	v_mul_f16_sdwa v36, v35, v16 dst_sel:DWORD dst_unused:UNUSED_PAD src0_sel:DWORD src1_sel:WORD_1
	v_lshrrev_b32_e32 v37, 16, v138
	v_mul_f16_sdwa v40, v132, v15 dst_sel:DWORD dst_unused:UNUSED_PAD src0_sel:DWORD src1_sel:WORD_1
	v_lshrrev_b32_e32 v41, 16, v140
	v_mul_f16_sdwa v42, v34, v23 dst_sel:DWORD dst_unused:UNUSED_PAD src0_sel:DWORD src1_sel:WORD_1
	v_mul_f16_sdwa v130, v138, v24 dst_sel:DWORD dst_unused:UNUSED_PAD src0_sel:DWORD src1_sel:WORD_1
	;; [unrolled: 1-line block ×3, first 2 shown]
	v_fma_f16 v30, v48, v13, -v30
	v_fma_f16 v36, v134, v16, -v36
	v_mul_f16_sdwa v43, v37, v24 dst_sel:DWORD dst_unused:UNUSED_PAD src0_sel:DWORD src1_sel:WORD_1
	v_mul_f16_sdwa v48, v134, v16 dst_sel:DWORD dst_unused:UNUSED_PAD src0_sel:DWORD src1_sel:WORD_1
	;; [unrolled: 1-line block ×3, first 2 shown]
	v_fma_f16 v42, v136, v23, -v42
	v_mul_f16_sdwa v129, v136, v23 dst_sel:DWORD dst_unused:UNUSED_PAD src0_sel:DWORD src1_sel:WORD_1
	v_fmac_f16_e32 v40, v29, v15
	v_fmac_f16_e32 v130, v37, v24
	;; [unrolled: 1-line block ×3, first 2 shown]
	v_fma_f16 v43, v138, v24, -v43
	v_fma_f16 v49, v140, v25, -v49
	v_fmac_f16_e32 v48, v35, v16
	v_sub_f16_e32 v29, v46, v36
	v_fmac_f16_e32 v129, v34, v23
	v_lshrrev_b32_e32 v34, 16, v46
	v_sub_f16_e32 v37, v33, v130
	v_sub_f16_e32 v41, v30, v42
	;; [unrolled: 1-line block ×3, first 2 shown]
	v_fma_f16 v35, v46, 2.0, -v29
	v_sub_f16_e32 v36, v31, v43
	v_sub_f16_e32 v43, v34, v48
	;; [unrolled: 1-line block ×6, first 2 shown]
	v_fma_f16 v31, v31, 2.0, -v36
	v_fma_f16 v33, v33, 2.0, -v37
	v_fma_f16 v29, v29, 2.0, -v48
	v_add_f16_e32 v37, v46, v49
	v_fma_f16 v130, v41, 2.0, -v129
	v_add_f16_e32 v36, v43, v36
	v_fma_f16 v30, v30, 2.0, -v41
	v_fma_f16 v40, v40, 2.0, -v42
	v_fma_f16 v28, v28, 2.0, -v49
	v_fma_f16 v34, v34, 2.0, -v43
	v_fma_f16 v32, v32, 2.0, -v46
	v_fma_f16 v41, v46, 2.0, -v37
	v_fmamk_f16 v42, v130, 0xb9a8, v29
	v_fma_f16 v131, v43, 2.0, -v36
	v_sub_f16_e32 v31, v35, v31
	v_sub_f16_e32 v28, v30, v28
	;; [unrolled: 1-line block ×4, first 2 shown]
	v_fmac_f16_e32 v42, 0xb9a8, v41
	v_fmamk_f16 v41, v41, 0xb9a8, v131
	v_fma_f16 v35, v35, 2.0, -v31
	v_fma_f16 v30, v30, 2.0, -v28
	;; [unrolled: 1-line block ×4, first 2 shown]
	v_fmamk_f16 v43, v129, 0x39a8, v48
	v_fmamk_f16 v46, v37, 0x39a8, v36
	v_fmac_f16_e32 v41, 0x39a8, v130
	v_sub_f16_e32 v30, v35, v30
	v_sub_f16_e32 v32, v34, v32
	v_fmac_f16_e32 v43, 0xb9a8, v37
	v_fmac_f16_e32 v46, 0x39a8, v129
	v_pack_b32_f16 v37, v39, v38
	v_sub_f16_e32 v38, v31, v40
	v_add_f16_e32 v28, v33, v28
	v_fma_f16 v35, v35, 2.0, -v30
	v_fma_f16 v34, v34, 2.0, -v32
	;; [unrolled: 1-line block ×8, first 2 shown]
	v_pack_b32_f16 v45, v45, v47
	v_pack_b32_f16 v34, v35, v34
	;; [unrolled: 1-line block ×9, first 2 shown]
	ds_write2st64_b32 v52, v37, v45 offset0:176 offset1:184
	ds_write2st64_b32 v52, v34, v29 offset0:192 offset1:200
	;; [unrolled: 1-line block ×5, first 2 shown]
	v_subrev_co_ci_u32_e32 v45, vcc_lo, 0, v27, vcc_lo
	v_add_co_u32 v26, vcc_lo, 0x3800, v44
	s_waitcnt lgkmcnt(0)
	v_add_co_ci_u32_e32 v27, vcc_lo, 0, v45, vcc_lo
	v_add_co_u32 v32, vcc_lo, 0x5000, v44
	v_add_co_ci_u32_e32 v33, vcc_lo, 0, v45, vcc_lo
	s_barrier
	buffer_gl0_inv
	s_clause 0x1
	global_load_dwordx3 v[29:31], v[26:27], off offset:2016
	global_load_dwordx3 v[26:28], v[32:33], off offset:2016
	v_add_co_u32 v32, vcc_lo, 0x6800, v44
	v_add_co_ci_u32_e32 v33, vcc_lo, 0, v45, vcc_lo
	v_add_co_u32 v38, vcc_lo, 0x8000, v44
	v_add_co_ci_u32_e32 v39, vcc_lo, 0, v45, vcc_lo
	s_clause 0x1
	global_load_dwordx3 v[35:37], v[32:33], off offset:2016
	global_load_dwordx3 v[32:34], v[38:39], off offset:2016
	v_add_co_u32 v38, vcc_lo, 0x9800, v44
	v_add_co_ci_u32_e32 v39, vcc_lo, 0, v45, vcc_lo
	v_add_co_u32 v46, vcc_lo, 0xb000, v44
	v_add_co_ci_u32_e32 v47, vcc_lo, 0, v45, vcc_lo
	global_load_dwordx3 v[41:43], v[38:39], off offset:2016
	global_load_dwordx3 v[38:40], v[46:47], off offset:2016
	v_add_co_u32 v46, vcc_lo, 0xc800, v44
	v_add_co_ci_u32_e32 v47, vcc_lo, 0, v45, vcc_lo
	v_add_co_u32 v44, vcc_lo, 0xe000, v44
	v_add_co_ci_u32_e32 v45, vcc_lo, 0, v45, vcc_lo
	global_load_dwordx3 v[47:49], v[46:47], off offset:2016
	global_load_dwordx3 v[44:46], v[44:45], off offset:2016
	ds_read2st64_b32 v[129:130], v52 offset0:64 offset1:72
	ds_read2st64_b32 v[131:132], v52 offset0:128 offset1:136
	;; [unrolled: 1-line block ×3, first 2 shown]
	s_waitcnt lgkmcnt(2)
	v_lshrrev_b32_e32 v135, 16, v129
	v_lshrrev_b32_e32 v137, 16, v130
	s_waitcnt lgkmcnt(1)
	v_lshrrev_b32_e32 v139, 16, v131
	v_lshrrev_b32_e32 v141, 16, v132
	;; [unrolled: 3-line block ×3, first 2 shown]
	s_waitcnt vmcnt(7)
	v_mul_f16_sdwa v136, v135, v29 dst_sel:DWORD dst_unused:UNUSED_PAD src0_sel:DWORD src1_sel:WORD_1
	v_mul_f16_sdwa v138, v129, v29 dst_sel:DWORD dst_unused:UNUSED_PAD src0_sel:DWORD src1_sel:WORD_1
	s_waitcnt vmcnt(6)
	v_mul_f16_sdwa v140, v137, v26 dst_sel:DWORD dst_unused:UNUSED_PAD src0_sel:DWORD src1_sel:WORD_1
	v_mul_f16_sdwa v142, v139, v30 dst_sel:DWORD dst_unused:UNUSED_PAD src0_sel:DWORD src1_sel:WORD_1
	;; [unrolled: 1-line block ×3, first 2 shown]
	v_fma_f16 v129, v129, v29, -v136
	v_fmac_f16_e32 v138, v135, v29
	ds_read2st64_b32 v[135:136], v52 offset1:8
	v_mul_f16_sdwa v146, v143, v31 dst_sel:DWORD dst_unused:UNUSED_PAD src0_sel:DWORD src1_sel:WORD_1
	v_mul_f16_sdwa v147, v144, v28 dst_sel:DWORD dst_unused:UNUSED_PAD src0_sel:DWORD src1_sel:WORD_1
	v_fma_f16 v140, v130, v26, -v140
	v_mul_f16_sdwa v130, v130, v26 dst_sel:DWORD dst_unused:UNUSED_PAD src0_sel:DWORD src1_sel:WORD_1
	v_fma_f16 v142, v131, v30, -v142
	v_fma_f16 v145, v132, v27, -v145
	v_mul_f16_sdwa v131, v131, v30 dst_sel:DWORD dst_unused:UNUSED_PAD src0_sel:DWORD src1_sel:WORD_1
	v_mul_f16_sdwa v132, v132, v27 dst_sel:DWORD dst_unused:UNUSED_PAD src0_sel:DWORD src1_sel:WORD_1
	;; [unrolled: 1-line block ×3, first 2 shown]
	v_fma_f16 v133, v133, v31, -v146
	v_fma_f16 v146, v134, v28, -v147
	v_mul_f16_sdwa v134, v134, v28 dst_sel:DWORD dst_unused:UNUSED_PAD src0_sel:DWORD src1_sel:WORD_1
	v_fmac_f16_e32 v131, v139, v30
	v_fmac_f16_e32 v130, v137, v26
	;; [unrolled: 1-line block ×5, first 2 shown]
	v_sub_f16_e32 v133, v129, v133
	s_waitcnt lgkmcnt(0)
	v_sub_f16_e32 v139, v135, v142
	v_lshrrev_b32_e32 v142, 16, v136
	v_lshrrev_b32_e32 v137, 16, v135
	v_sub_f16_e32 v141, v136, v145
	v_sub_f16_e32 v134, v130, v134
	v_fma_f16 v129, v129, 2.0, -v133
	v_sub_f16_e32 v144, v142, v132
	v_sub_f16_e32 v132, v140, v146
	;; [unrolled: 1-line block ×3, first 2 shown]
	v_fma_f16 v131, v135, 2.0, -v139
	v_fma_f16 v135, v136, 2.0, -v141
	v_sub_f16_e32 v136, v138, v148
	v_fma_f16 v142, v142, 2.0, -v144
	v_fma_f16 v140, v140, 2.0, -v132
	;; [unrolled: 1-line block ×5, first 2 shown]
	v_sub_f16_e32 v145, v131, v129
	v_sub_f16_e32 v140, v135, v140
	;; [unrolled: 1-line block ×4, first 2 shown]
	v_add_f16_e32 v148, v143, v133
	ds_read2st64_b32 v[129:130], v52 offset0:80 offset1:88
	v_sub_f16_e32 v138, v137, v138
	v_fma_f16 v135, v135, 2.0, -v140
	v_fma_f16 v142, v142, 2.0, -v146
	v_sub_f16_e32 v149, v141, v134
	v_fma_f16 v133, v139, 2.0, -v136
	v_fma_f16 v134, v143, 2.0, -v148
	v_add_f16_e32 v150, v144, v132
	v_fma_f16 v147, v131, 2.0, -v145
	v_fma_f16 v137, v137, 2.0, -v138
	ds_read2st64_b32 v[131:132], v52 offset0:144 offset1:152
	v_pack_b32_f16 v135, v135, v142
	v_pack_b32_f16 v142, v133, v134
	ds_read2st64_b32 v[133:134], v52 offset0:208 offset1:216
	v_fma_f16 v139, v141, 2.0, -v149
	v_fma_f16 v141, v144, 2.0, -v150
	v_pack_b32_f16 v137, v147, v137
	v_pack_b32_f16 v138, v145, v138
	;; [unrolled: 1-line block ×5, first 2 shown]
	ds_write2st64_b32 v52, v137, v135 offset1:8
	ds_write2st64_b32 v52, v142, v139 offset0:64 offset1:72
	ds_write2st64_b32 v52, v138, v140 offset0:128 offset1:136
	s_waitcnt lgkmcnt(5)
	v_lshrrev_b32_e32 v135, 16, v129
	v_lshrrev_b32_e32 v137, 16, v130
	s_waitcnt vmcnt(5)
	v_mul_f16_sdwa v138, v129, v35 dst_sel:DWORD dst_unused:UNUSED_PAD src0_sel:DWORD src1_sel:WORD_1
	v_pack_b32_f16 v141, v136, v148
	v_mul_f16_sdwa v142, v135, v35 dst_sel:DWORD dst_unused:UNUSED_PAD src0_sel:DWORD src1_sel:WORD_1
	s_waitcnt vmcnt(4)
	v_mul_f16_sdwa v144, v137, v32 dst_sel:DWORD dst_unused:UNUSED_PAD src0_sel:DWORD src1_sel:WORD_1
	v_fmac_f16_e32 v138, v135, v35
	ds_read2st64_b32 v[135:136], v52 offset0:16 offset1:24
	s_waitcnt lgkmcnt(5)
	v_lshrrev_b32_e32 v139, 16, v131
	v_lshrrev_b32_e32 v140, 16, v132
	v_fma_f16 v129, v129, v35, -v142
	v_fma_f16 v142, v130, v32, -v144
	s_waitcnt lgkmcnt(4)
	v_lshrrev_b32_e32 v144, 16, v133
	v_lshrrev_b32_e32 v147, 16, v134
	v_mul_f16_sdwa v145, v139, v36 dst_sel:DWORD dst_unused:UNUSED_PAD src0_sel:DWORD src1_sel:WORD_1
	v_mul_f16_sdwa v146, v140, v33 dst_sel:DWORD dst_unused:UNUSED_PAD src0_sel:DWORD src1_sel:WORD_1
	;; [unrolled: 1-line block ×5, first 2 shown]
	v_fma_f16 v145, v131, v36, -v145
	v_fma_f16 v146, v132, v33, -v146
	v_mul_f16_sdwa v131, v131, v36 dst_sel:DWORD dst_unused:UNUSED_PAD src0_sel:DWORD src1_sel:WORD_1
	v_mul_f16_sdwa v132, v132, v33 dst_sel:DWORD dst_unused:UNUSED_PAD src0_sel:DWORD src1_sel:WORD_1
	;; [unrolled: 1-line block ×3, first 2 shown]
	v_fma_f16 v133, v133, v37, -v148
	v_fma_f16 v148, v134, v34, -v149
	v_mul_f16_sdwa v134, v134, v34 dst_sel:DWORD dst_unused:UNUSED_PAD src0_sel:DWORD src1_sel:WORD_1
	v_fmac_f16_e32 v131, v139, v36
	v_fmac_f16_e32 v150, v144, v37
	;; [unrolled: 1-line block ×4, first 2 shown]
	s_waitcnt lgkmcnt(0)
	v_lshrrev_b32_e32 v137, 16, v135
	v_sub_f16_e32 v139, v135, v145
	v_fmac_f16_e32 v134, v147, v34
	v_lshrrev_b32_e32 v144, 16, v136
	v_sub_f16_e32 v133, v129, v133
	v_sub_f16_e32 v140, v136, v146
	;; [unrolled: 1-line block ×3, first 2 shown]
	v_fma_f16 v131, v135, 2.0, -v139
	v_sub_f16_e32 v146, v142, v148
	v_fma_f16 v129, v129, 2.0, -v133
	v_sub_f16_e32 v147, v144, v132
	v_sub_f16_e32 v132, v130, v134
	;; [unrolled: 1-line block ×3, first 2 shown]
	v_fma_f16 v134, v142, 2.0, -v146
	v_sub_f16_e32 v142, v131, v129
	v_fma_f16 v136, v136, 2.0, -v140
	v_fma_f16 v148, v130, 2.0, -v132
	ds_read2st64_b32 v[129:130], v52 offset0:96 offset1:104
	v_fma_f16 v137, v137, 2.0, -v145
	v_fma_f16 v138, v138, 2.0, -v135
	v_fma_f16 v144, v144, 2.0, -v147
	v_fma_f16 v150, v131, 2.0, -v142
	v_sub_f16_e32 v152, v140, v132
	ds_read2st64_b32 v[131:132], v52 offset0:160 offset1:168
	v_sub_f16_e32 v138, v137, v138
	v_sub_f16_e32 v149, v136, v134
	;; [unrolled: 1-line block ×4, first 2 shown]
	v_add_f16_e32 v151, v145, v133
	v_add_f16_e32 v146, v147, v146
	ds_read2st64_b32 v[133:134], v52 offset0:224 offset1:232
	v_fma_f16 v137, v137, 2.0, -v138
	v_fma_f16 v136, v136, 2.0, -v149
	;; [unrolled: 1-line block ×7, first 2 shown]
	v_pack_b32_f16 v137, v150, v137
	v_pack_b32_f16 v136, v136, v144
	;; [unrolled: 1-line block ×3, first 2 shown]
	ds_write2st64_b32 v52, v141, v143 offset0:192 offset1:200
	v_pack_b32_f16 v140, v140, v147
	s_waitcnt lgkmcnt(3)
	v_lshrrev_b32_e32 v141, 16, v129
	ds_write2st64_b32 v52, v137, v136 offset0:16 offset1:24
	v_lshrrev_b32_e32 v136, 16, v130
	v_pack_b32_f16 v138, v142, v138
	ds_write2st64_b32 v52, v139, v140 offset0:80 offset1:88
	s_waitcnt vmcnt(3)
	v_mul_f16_sdwa v139, v141, v41 dst_sel:DWORD dst_unused:UNUSED_PAD src0_sel:DWORD src1_sel:WORD_1
	s_waitcnt lgkmcnt(4)
	v_lshrrev_b32_e32 v142, 16, v131
	v_mul_f16_sdwa v137, v129, v41 dst_sel:DWORD dst_unused:UNUSED_PAD src0_sel:DWORD src1_sel:WORD_1
	s_waitcnt vmcnt(2)
	v_mul_f16_sdwa v140, v136, v38 dst_sel:DWORD dst_unused:UNUSED_PAD src0_sel:DWORD src1_sel:WORD_1
	s_waitcnt lgkmcnt(3)
	v_lshrrev_b32_e32 v143, 16, v133
	v_fma_f16 v139, v129, v41, -v139
	v_mul_f16_sdwa v129, v142, v42 dst_sel:DWORD dst_unused:UNUSED_PAD src0_sel:DWORD src1_sel:WORD_1
	v_lshrrev_b32_e32 v144, 16, v134
	v_fma_f16 v140, v130, v38, -v140
	v_mul_f16_sdwa v147, v130, v38 dst_sel:DWORD dst_unused:UNUSED_PAD src0_sel:DWORD src1_sel:WORD_1
	v_fmac_f16_e32 v137, v141, v41
	v_fma_f16 v150, v131, v42, -v129
	v_mul_f16_sdwa v129, v143, v43 dst_sel:DWORD dst_unused:UNUSED_PAD src0_sel:DWORD src1_sel:WORD_1
	v_mul_f16_sdwa v130, v144, v40 dst_sel:DWORD dst_unused:UNUSED_PAD src0_sel:DWORD src1_sel:WORD_1
	v_lshrrev_b32_e32 v141, 16, v132
	v_mul_f16_sdwa v131, v131, v42 dst_sel:DWORD dst_unused:UNUSED_PAD src0_sel:DWORD src1_sel:WORD_1
	v_fmac_f16_e32 v147, v136, v38
	v_fma_f16 v153, v133, v43, -v129
	v_fma_f16 v154, v134, v40, -v130
	ds_read2st64_b32 v[129:130], v52 offset0:32 offset1:40
	v_mul_f16_sdwa v145, v141, v39 dst_sel:DWORD dst_unused:UNUSED_PAD src0_sel:DWORD src1_sel:WORD_1
	v_mul_f16_sdwa v133, v133, v43 dst_sel:DWORD dst_unused:UNUSED_PAD src0_sel:DWORD src1_sel:WORD_1
	;; [unrolled: 1-line block ×3, first 2 shown]
	v_fmac_f16_e32 v131, v142, v42
	v_pack_b32_f16 v148, v149, v148
	v_fma_f16 v145, v132, v39, -v145
	v_mul_f16_sdwa v132, v132, v39 dst_sel:DWORD dst_unused:UNUSED_PAD src0_sel:DWORD src1_sel:WORD_1
	v_fmac_f16_e32 v133, v143, v43
	v_fmac_f16_e32 v134, v144, v40
	v_pack_b32_f16 v135, v135, v151
	v_pack_b32_f16 v146, v152, v146
	v_fmac_f16_e32 v132, v141, v39
	v_sub_f16_e32 v133, v137, v133
	v_sub_f16_e32 v134, v147, v134
	ds_write2st64_b32 v52, v138, v148 offset0:144 offset1:152
	v_fma_f16 v137, v137, 2.0, -v133
	v_fma_f16 v147, v147, 2.0, -v134
	s_waitcnt lgkmcnt(1)
	v_lshrrev_b32_e32 v136, 16, v129
	v_lshrrev_b32_e32 v143, 16, v130
	v_sub_f16_e32 v141, v129, v150
	v_sub_f16_e32 v142, v130, v145
	;; [unrolled: 1-line block ×6, first 2 shown]
	v_fma_f16 v129, v129, 2.0, -v141
	v_fma_f16 v130, v130, 2.0, -v142
	;; [unrolled: 1-line block ×6, first 2 shown]
	v_add_f16_e32 v148, v144, v131
	v_sub_f16_e32 v139, v129, v139
	v_sub_f16_e32 v137, v136, v137
	;; [unrolled: 1-line block ×4, first 2 shown]
	v_fma_f16 v144, v144, 2.0, -v148
	v_fma_f16 v149, v129, 2.0, -v139
	;; [unrolled: 1-line block ×4, first 2 shown]
	ds_read2st64_b32 v[129:130], v52 offset0:112 offset1:120
	v_fma_f16 v143, v143, 2.0, -v147
	v_pack_b32_f16 v137, v139, v137
	v_pack_b32_f16 v136, v149, v136
	v_sub_f16_e32 v149, v142, v134
	v_pack_b32_f16 v138, v150, v143
	v_sub_f16_e32 v143, v141, v133
	v_add_f16_e32 v150, v145, v132
	ds_read2st64_b32 v[131:132], v52 offset0:176 offset1:184
	ds_write2st64_b32 v52, v135, v146 offset0:208 offset1:216
	ds_write2st64_b32 v52, v136, v138 offset0:32 offset1:40
	v_fma_f16 v142, v142, 2.0, -v149
	v_fma_f16 v141, v141, 2.0, -v143
	;; [unrolled: 1-line block ×3, first 2 shown]
	ds_read2st64_b32 v[133:134], v52 offset0:240 offset1:248
	v_pack_b32_f16 v138, v140, v147
	v_pack_b32_f16 v143, v143, v148
	;; [unrolled: 1-line block ×4, first 2 shown]
	ds_write2st64_b32 v52, v135, v136 offset0:96 offset1:104
	ds_write2st64_b32 v52, v137, v138 offset0:160 offset1:168
	s_waitcnt lgkmcnt(6)
	v_lshrrev_b32_e32 v139, 16, v129
	v_lshrrev_b32_e32 v140, 16, v130
	s_waitcnt vmcnt(1)
	v_mul_f16_sdwa v141, v129, v47 dst_sel:DWORD dst_unused:UNUSED_PAD src0_sel:DWORD src1_sel:WORD_1
	v_mul_f16_sdwa v135, v139, v47 dst_sel:DWORD dst_unused:UNUSED_PAD src0_sel:DWORD src1_sel:WORD_1
	s_waitcnt vmcnt(0)
	v_mul_f16_sdwa v136, v140, v44 dst_sel:DWORD dst_unused:UNUSED_PAD src0_sel:DWORD src1_sel:WORD_1
	v_fmac_f16_e32 v141, v139, v47
	s_waitcnt lgkmcnt(5)
	v_lshrrev_b32_e32 v137, 16, v131
	v_lshrrev_b32_e32 v138, 16, v132
	v_fma_f16 v129, v129, v47, -v135
	v_fma_f16 v139, v130, v44, -v136
	ds_read2st64_b32 v[135:136], v52 offset0:48 offset1:56
	s_waitcnt lgkmcnt(3)
	v_lshrrev_b32_e32 v145, 16, v133
	v_lshrrev_b32_e32 v146, 16, v134
	v_mul_f16_sdwa v142, v137, v48 dst_sel:DWORD dst_unused:UNUSED_PAD src0_sel:DWORD src1_sel:WORD_1
	v_mul_f16_sdwa v144, v138, v45 dst_sel:DWORD dst_unused:UNUSED_PAD src0_sel:DWORD src1_sel:WORD_1
	;; [unrolled: 1-line block ×5, first 2 shown]
	v_fma_f16 v142, v131, v48, -v142
	v_fma_f16 v144, v132, v45, -v144
	v_mul_f16_sdwa v131, v131, v48 dst_sel:DWORD dst_unused:UNUSED_PAD src0_sel:DWORD src1_sel:WORD_1
	v_mul_f16_sdwa v132, v132, v45 dst_sel:DWORD dst_unused:UNUSED_PAD src0_sel:DWORD src1_sel:WORD_1
	;; [unrolled: 1-line block ×3, first 2 shown]
	v_fma_f16 v133, v133, v49, -v147
	v_fma_f16 v147, v134, v46, -v151
	v_mul_f16_sdwa v134, v134, v46 dst_sel:DWORD dst_unused:UNUSED_PAD src0_sel:DWORD src1_sel:WORD_1
	v_fmac_f16_e32 v131, v137, v48
	v_fmac_f16_e32 v152, v145, v49
	;; [unrolled: 1-line block ×4, first 2 shown]
	s_waitcnt lgkmcnt(0)
	v_lshrrev_b32_e32 v137, 16, v135
	v_sub_f16_e32 v138, v135, v142
	v_fmac_f16_e32 v134, v146, v46
	v_lshrrev_b32_e32 v142, 16, v136
	v_sub_f16_e32 v140, v136, v144
	v_sub_f16_e32 v131, v137, v131
	;; [unrolled: 1-line block ×7, first 2 shown]
	v_fma_f16 v135, v135, 2.0, -v138
	v_fma_f16 v136, v136, 2.0, -v140
	;; [unrolled: 1-line block ×8, first 2 shown]
	v_sub_f16_e32 v129, v135, v129
	v_sub_f16_e32 v141, v137, v141
	;; [unrolled: 1-line block ×5, first 2 shown]
	v_add_f16_e32 v133, v131, v133
	v_sub_f16_e32 v134, v140, v134
	v_add_f16_e32 v145, v132, v145
	v_fma_f16 v135, v135, 2.0, -v129
	v_fma_f16 v137, v137, 2.0, -v141
	;; [unrolled: 1-line block ×8, first 2 shown]
	v_pack_b32_f16 v146, v149, v150
	v_pack_b32_f16 v135, v135, v137
	;; [unrolled: 1-line block ×9, first 2 shown]
	ds_write2st64_b32 v52, v143, v146 offset0:224 offset1:232
	ds_write2st64_b32 v52, v135, v136 offset0:48 offset1:56
	;; [unrolled: 1-line block ×5, first 2 shown]
	s_waitcnt lgkmcnt(0)
	s_barrier
	buffer_gl0_inv
	s_clause 0x1f
	global_load_dword v129, v52, s[6:7]
	global_load_dword v111, v111, s[6:7]
	;; [unrolled: 1-line block ×32, first 2 shown]
	ds_read2st64_b32 v[85:86], v52 offset1:8
	ds_read2st64_b32 v[87:88], v52 offset0:32 offset1:40
	ds_read2st64_b32 v[89:90], v52 offset0:64 offset1:72
	s_waitcnt lgkmcnt(2)
	v_lshrrev_b32_e32 v95, 16, v85
	v_lshrrev_b32_e32 v137, 16, v86
	s_waitcnt vmcnt(31)
	v_mul_f16_sdwa v138, v85, v129 dst_sel:DWORD dst_unused:UNUSED_PAD src0_sel:DWORD src1_sel:WORD_1
	v_mul_f16_sdwa v139, v95, v129 dst_sel:DWORD dst_unused:UNUSED_PAD src0_sel:DWORD src1_sel:WORD_1
	s_waitcnt vmcnt(30)
	v_mul_f16_sdwa v140, v137, v111 dst_sel:DWORD dst_unused:UNUSED_PAD src0_sel:DWORD src1_sel:WORD_1
	v_mul_f16_sdwa v141, v86, v111 dst_sel:DWORD dst_unused:UNUSED_PAD src0_sel:DWORD src1_sel:WORD_1
	v_fmac_f16_e32 v138, v95, v129
	v_fma_f16 v85, v85, v129, -v139
	v_fma_f16 v86, v86, v111, -v140
	v_fmac_f16_e32 v141, v137, v111
	s_waitcnt lgkmcnt(1)
	v_lshrrev_b32_e32 v95, 16, v87
	s_waitcnt vmcnt(29)
	v_mul_f16_sdwa v111, v87, v105 dst_sel:DWORD dst_unused:UNUSED_PAD src0_sel:DWORD src1_sel:WORD_1
	v_lshrrev_b32_e32 v129, 16, v88
	v_pack_b32_f16 v137, v85, v138
	v_pack_b32_f16 v138, v86, v141
	ds_read2st64_b32 v[85:86], v52 offset0:96 offset1:104
	v_mul_f16_sdwa v139, v95, v105 dst_sel:DWORD dst_unused:UNUSED_PAD src0_sel:DWORD src1_sel:WORD_1
	v_fmac_f16_e32 v111, v95, v105
	s_waitcnt vmcnt(28)
	v_mul_f16_sdwa v95, v129, v106 dst_sel:DWORD dst_unused:UNUSED_PAD src0_sel:DWORD src1_sel:WORD_1
	v_mul_f16_sdwa v140, v88, v106 dst_sel:DWORD dst_unused:UNUSED_PAD src0_sel:DWORD src1_sel:WORD_1
	s_waitcnt lgkmcnt(1)
	v_lshrrev_b32_e32 v141, 16, v90
	v_fma_f16 v105, v87, v105, -v139
	v_lshrrev_b32_e32 v139, 16, v89
	v_fma_f16 v95, v88, v106, -v95
	ds_read2st64_b32 v[87:88], v52 offset0:128 offset1:136
	v_fmac_f16_e32 v140, v129, v106
	s_waitcnt vmcnt(27)
	v_mul_f16_sdwa v106, v89, v96 dst_sel:DWORD dst_unused:UNUSED_PAD src0_sel:DWORD src1_sel:WORD_1
	v_mul_f16_sdwa v129, v139, v96 dst_sel:DWORD dst_unused:UNUSED_PAD src0_sel:DWORD src1_sel:WORD_1
	s_waitcnt vmcnt(26)
	v_mul_f16_sdwa v142, v141, v103 dst_sel:DWORD dst_unused:UNUSED_PAD src0_sel:DWORD src1_sel:WORD_1
	v_mul_f16_sdwa v143, v90, v103 dst_sel:DWORD dst_unused:UNUSED_PAD src0_sel:DWORD src1_sel:WORD_1
	v_pack_b32_f16 v95, v95, v140
	v_fmac_f16_e32 v106, v139, v96
	v_fma_f16 v89, v89, v96, -v129
	v_fma_f16 v90, v90, v103, -v142
	v_fmac_f16_e32 v143, v141, v103
	v_pack_b32_f16 v96, v105, v111
	s_waitcnt lgkmcnt(1)
	v_lshrrev_b32_e32 v105, 16, v85
	v_pack_b32_f16 v103, v89, v106
	ds_write2st64_b32 v52, v137, v138 offset1:8
	v_pack_b32_f16 v106, v90, v143
	ds_write2st64_b32 v52, v96, v95 offset0:32 offset1:40
	s_waitcnt vmcnt(25)
	v_mul_f16_sdwa v95, v85, v94 dst_sel:DWORD dst_unused:UNUSED_PAD src0_sel:DWORD src1_sel:WORD_1
	v_lshrrev_b32_e32 v96, 16, v86
	v_mul_f16_sdwa v111, v105, v94 dst_sel:DWORD dst_unused:UNUSED_PAD src0_sel:DWORD src1_sel:WORD_1
	ds_read2st64_b32 v[89:90], v52 offset0:160 offset1:168
	ds_write2st64_b32 v52, v103, v106 offset0:64 offset1:72
	v_fmac_f16_e32 v95, v105, v94
	s_waitcnt vmcnt(24)
	v_mul_f16_sdwa v103, v96, v98 dst_sel:DWORD dst_unused:UNUSED_PAD src0_sel:DWORD src1_sel:WORD_1
	v_fma_f16 v94, v85, v94, -v111
	s_waitcnt lgkmcnt(4)
	v_lshrrev_b32_e32 v85, 16, v87
	v_mul_f16_sdwa v106, v86, v98 dst_sel:DWORD dst_unused:UNUSED_PAD src0_sel:DWORD src1_sel:WORD_1
	s_waitcnt vmcnt(23)
	v_mul_f16_sdwa v111, v87, v93 dst_sel:DWORD dst_unused:UNUSED_PAD src0_sel:DWORD src1_sel:WORD_1
	v_fma_f16 v103, v86, v98, -v103
	v_lshrrev_b32_e32 v105, 16, v88
	v_mul_f16_sdwa v86, v85, v93 dst_sel:DWORD dst_unused:UNUSED_PAD src0_sel:DWORD src1_sel:WORD_1
	v_fmac_f16_e32 v106, v96, v98
	v_fmac_f16_e32 v111, v85, v93
	s_waitcnt vmcnt(22)
	v_mul_f16_sdwa v96, v88, v97 dst_sel:DWORD dst_unused:UNUSED_PAD src0_sel:DWORD src1_sel:WORD_1
	v_mul_f16_sdwa v129, v105, v97 dst_sel:DWORD dst_unused:UNUSED_PAD src0_sel:DWORD src1_sel:WORD_1
	v_fma_f16 v87, v87, v93, -v86
	ds_read2st64_b32 v[85:86], v52 offset0:192 offset1:200
	v_pack_b32_f16 v94, v94, v95
	v_fmac_f16_e32 v96, v105, v97
	v_fma_f16 v93, v88, v97, -v129
	s_waitcnt lgkmcnt(2)
	v_lshrrev_b32_e32 v95, 16, v89
	v_lshrrev_b32_e32 v97, 16, v90
	v_pack_b32_f16 v105, v87, v111
	ds_read2st64_b32 v[87:88], v52 offset0:224 offset1:232
	v_pack_b32_f16 v98, v103, v106
	s_waitcnt vmcnt(21)
	v_mul_f16_sdwa v103, v89, v92 dst_sel:DWORD dst_unused:UNUSED_PAD src0_sel:DWORD src1_sel:WORD_1
	v_mul_f16_sdwa v106, v95, v92 dst_sel:DWORD dst_unused:UNUSED_PAD src0_sel:DWORD src1_sel:WORD_1
	s_waitcnt vmcnt(20)
	v_mul_f16_sdwa v111, v97, v101 dst_sel:DWORD dst_unused:UNUSED_PAD src0_sel:DWORD src1_sel:WORD_1
	v_mul_f16_sdwa v129, v90, v101 dst_sel:DWORD dst_unused:UNUSED_PAD src0_sel:DWORD src1_sel:WORD_1
	v_pack_b32_f16 v93, v93, v96
	v_fmac_f16_e32 v103, v95, v92
	v_fma_f16 v89, v89, v92, -v106
	v_fma_f16 v90, v90, v101, -v111
	v_fmac_f16_e32 v129, v97, v101
	ds_write2st64_b32 v52, v94, v98 offset0:96 offset1:104
	ds_write2st64_b32 v52, v105, v93 offset0:128 offset1:136
	s_waitcnt lgkmcnt(3)
	v_lshrrev_b32_e32 v93, 16, v85
	v_pack_b32_f16 v92, v89, v103
	v_pack_b32_f16 v94, v90, v129
	s_waitcnt vmcnt(19)
	v_mul_f16_sdwa v95, v85, v91 dst_sel:DWORD dst_unused:UNUSED_PAD src0_sel:DWORD src1_sel:WORD_1
	v_lshrrev_b32_e32 v96, 16, v86
	ds_read2st64_b32 v[89:90], v52 offset0:16 offset1:24
	v_mul_f16_sdwa v97, v93, v91 dst_sel:DWORD dst_unused:UNUSED_PAD src0_sel:DWORD src1_sel:WORD_1
	ds_write2st64_b32 v52, v92, v94 offset0:160 offset1:168
	v_fmac_f16_e32 v95, v93, v91
	s_waitcnt vmcnt(18)
	v_mul_f16_sdwa v93, v96, v99 dst_sel:DWORD dst_unused:UNUSED_PAD src0_sel:DWORD src1_sel:WORD_1
	v_mul_f16_sdwa v94, v86, v99 dst_sel:DWORD dst_unused:UNUSED_PAD src0_sel:DWORD src1_sel:WORD_1
	v_fma_f16 v85, v85, v91, -v97
	s_waitcnt lgkmcnt(4)
	v_lshrrev_b32_e32 v97, 16, v87
	ds_read2st64_b32 v[91:92], v52 offset0:48 offset1:56
	v_fma_f16 v86, v86, v99, -v93
	v_fmac_f16_e32 v94, v96, v99
	s_waitcnt vmcnt(17)
	v_mul_f16_sdwa v93, v87, v130 dst_sel:DWORD dst_unused:UNUSED_PAD src0_sel:DWORD src1_sel:WORD_1
	v_mul_f16_sdwa v96, v97, v130 dst_sel:DWORD dst_unused:UNUSED_PAD src0_sel:DWORD src1_sel:WORD_1
	v_lshrrev_b32_e32 v98, 16, v88
	v_pack_b32_f16 v95, v85, v95
	v_pack_b32_f16 v94, v86, v94
	v_fmac_f16_e32 v93, v97, v130
	v_fma_f16 v87, v87, v130, -v96
	s_waitcnt vmcnt(16)
	v_mul_f16_sdwa v96, v98, v104 dst_sel:DWORD dst_unused:UNUSED_PAD src0_sel:DWORD src1_sel:WORD_1
	v_mul_f16_sdwa v97, v88, v104 dst_sel:DWORD dst_unused:UNUSED_PAD src0_sel:DWORD src1_sel:WORD_1
	ds_read2st64_b32 v[85:86], v52 offset0:80 offset1:88
	s_waitcnt lgkmcnt(3)
	v_lshrrev_b32_e32 v99, 16, v89
	ds_write2st64_b32 v52, v95, v94 offset0:192 offset1:200
	v_fma_f16 v94, v88, v104, -v96
	v_fmac_f16_e32 v97, v98, v104
	v_pack_b32_f16 v93, v87, v93
	s_waitcnt vmcnt(15)
	v_mul_f16_sdwa v95, v99, v131 dst_sel:DWORD dst_unused:UNUSED_PAD src0_sel:DWORD src1_sel:WORD_1
	v_mul_f16_sdwa v96, v89, v131 dst_sel:DWORD dst_unused:UNUSED_PAD src0_sel:DWORD src1_sel:WORD_1
	s_waitcnt lgkmcnt(2)
	v_lshrrev_b32_e32 v98, 16, v91
	ds_read2st64_b32 v[87:88], v52 offset0:112 offset1:120
	v_pack_b32_f16 v94, v94, v97
	v_fma_f16 v89, v89, v131, -v95
	v_fmac_f16_e32 v96, v99, v131
	s_waitcnt vmcnt(14)
	v_mul_f16_sdwa v95, v91, v132 dst_sel:DWORD dst_unused:UNUSED_PAD src0_sel:DWORD src1_sel:WORD_1
	v_mul_f16_sdwa v97, v98, v132 dst_sel:DWORD dst_unused:UNUSED_PAD src0_sel:DWORD src1_sel:WORD_1
	ds_write2st64_b32 v52, v93, v94 offset0:224 offset1:232
	ds_read2st64_b32 v[93:94], v52 offset0:144 offset1:152
	v_lshrrev_b32_e32 v99, 16, v90
	v_pack_b32_f16 v101, v89, v96
	v_fmac_f16_e32 v95, v98, v132
	v_fma_f16 v89, v91, v132, -v97
	s_waitcnt lgkmcnt(4)
	v_lshrrev_b32_e32 v91, 16, v85
	s_waitcnt vmcnt(13)
	v_mul_f16_sdwa v96, v99, v107 dst_sel:DWORD dst_unused:UNUSED_PAD src0_sel:DWORD src1_sel:WORD_1
	v_mul_f16_sdwa v97, v90, v107 dst_sel:DWORD dst_unused:UNUSED_PAD src0_sel:DWORD src1_sel:WORD_1
	s_waitcnt vmcnt(10)
	v_mul_f16_sdwa v106, v92, v108 dst_sel:DWORD dst_unused:UNUSED_PAD src0_sel:DWORD src1_sel:WORD_1
	v_pack_b32_f16 v98, v89, v95
	v_mul_f16_sdwa v95, v85, v133 dst_sel:DWORD dst_unused:UNUSED_PAD src0_sel:DWORD src1_sel:WORD_1
	v_mul_f16_sdwa v89, v91, v133 dst_sel:DWORD dst_unused:UNUSED_PAD src0_sel:DWORD src1_sel:WORD_1
	v_fma_f16 v103, v90, v107, -v96
	s_waitcnt lgkmcnt(2)
	v_lshrrev_b32_e32 v96, 16, v87
	v_fmac_f16_e32 v97, v99, v107
	v_fmac_f16_e32 v95, v91, v133
	v_lshrrev_b32_e32 v91, 16, v92
	v_fma_f16 v85, v85, v133, -v89
	ds_read2st64_b32 v[89:90], v52 offset0:176 offset1:184
	v_mul_f16_sdwa v99, v87, v134 dst_sel:DWORD dst_unused:UNUSED_PAD src0_sel:DWORD src1_sel:WORD_1
	v_mul_f16_sdwa v104, v96, v134 dst_sel:DWORD dst_unused:UNUSED_PAD src0_sel:DWORD src1_sel:WORD_1
	;; [unrolled: 1-line block ×3, first 2 shown]
	s_waitcnt lgkmcnt(1)
	v_lshrrev_b32_e32 v107, 16, v93
	v_pack_b32_f16 v85, v85, v95
	v_fmac_f16_e32 v99, v96, v134
	ds_read2st64_b32 v[95:96], v52 offset0:208 offset1:216
	v_fma_f16 v87, v87, v134, -v104
	v_fma_f16 v92, v92, v108, -v105
	v_fmac_f16_e32 v106, v91, v108
	s_waitcnt vmcnt(9)
	v_mul_f16_sdwa v91, v107, v135 dst_sel:DWORD dst_unused:UNUSED_PAD src0_sel:DWORD src1_sel:WORD_1
	v_mul_f16_sdwa v104, v93, v135 dst_sel:DWORD dst_unused:UNUSED_PAD src0_sel:DWORD src1_sel:WORD_1
	v_pack_b32_f16 v87, v87, v99
	v_pack_b32_f16 v97, v103, v97
	;; [unrolled: 1-line block ×3, first 2 shown]
	v_fma_f16 v93, v93, v135, -v91
	ds_read2st64_b32 v[91:92], v52 offset0:240 offset1:248
	s_waitcnt vmcnt(7)
	v_mul_f16_sdwa v105, v86, v109 dst_sel:DWORD dst_unused:UNUSED_PAD src0_sel:DWORD src1_sel:WORD_1
	ds_write2st64_b32 v52, v101, v97 offset0:16 offset1:24
	s_waitcnt lgkmcnt(3)
	v_lshrrev_b32_e32 v97, 16, v89
	ds_write2st64_b32 v52, v98, v99 offset0:48 offset1:56
	v_mul_f16_sdwa v98, v89, v136 dst_sel:DWORD dst_unused:UNUSED_PAD src0_sel:DWORD src1_sel:WORD_1
	v_lshrrev_b32_e32 v99, 16, v86
	v_fmac_f16_e32 v104, v107, v135
	v_mul_f16_sdwa v101, v97, v136 dst_sel:DWORD dst_unused:UNUSED_PAD src0_sel:DWORD src1_sel:WORD_1
	v_fmac_f16_e32 v98, v97, v136
	v_mul_f16_sdwa v97, v99, v109 dst_sel:DWORD dst_unused:UNUSED_PAD src0_sel:DWORD src1_sel:WORD_1
	s_waitcnt lgkmcnt(3)
	v_lshrrev_b32_e32 v103, 16, v95
	v_fma_f16 v89, v89, v136, -v101
	v_fmac_f16_e32 v105, v99, v109
	v_pack_b32_f16 v93, v93, v104
	v_fma_f16 v86, v86, v109, -v97
	s_waitcnt vmcnt(6)
	v_mul_f16_sdwa v104, v95, v100 dst_sel:DWORD dst_unused:UNUSED_PAD src0_sel:DWORD src1_sel:WORD_1
	v_mul_f16_sdwa v106, v103, v100 dst_sel:DWORD dst_unused:UNUSED_PAD src0_sel:DWORD src1_sel:WORD_1
	v_pack_b32_f16 v89, v89, v98
	s_waitcnt lgkmcnt(2)
	v_lshrrev_b32_e32 v97, 16, v91
	v_lshrrev_b32_e32 v98, 16, v88
	v_pack_b32_f16 v86, v86, v105
	v_fmac_f16_e32 v104, v103, v100
	v_fma_f16 v95, v95, v100, -v106
	s_waitcnt vmcnt(5)
	v_mul_f16_sdwa v99, v91, v102 dst_sel:DWORD dst_unused:UNUSED_PAD src0_sel:DWORD src1_sel:WORD_1
	v_mul_f16_sdwa v100, v97, v102 dst_sel:DWORD dst_unused:UNUSED_PAD src0_sel:DWORD src1_sel:WORD_1
	s_waitcnt vmcnt(4)
	v_mul_f16_sdwa v101, v98, v110 dst_sel:DWORD dst_unused:UNUSED_PAD src0_sel:DWORD src1_sel:WORD_1
	ds_write2st64_b32 v52, v85, v86 offset0:80 offset1:88
	v_lshrrev_b32_e32 v85, 16, v94
	v_fmac_f16_e32 v99, v97, v102
	v_fma_f16 v86, v91, v102, -v100
	v_fma_f16 v91, v88, v110, -v101
	v_mul_f16_sdwa v88, v88, v110 dst_sel:DWORD dst_unused:UNUSED_PAD src0_sel:DWORD src1_sel:WORD_1
	v_lshrrev_b32_e32 v97, 16, v90
	s_waitcnt vmcnt(3)
	v_mul_f16_sdwa v100, v85, v112 dst_sel:DWORD dst_unused:UNUSED_PAD src0_sel:DWORD src1_sel:WORD_1
	v_pack_b32_f16 v86, v86, v99
	v_mul_f16_sdwa v99, v94, v112 dst_sel:DWORD dst_unused:UNUSED_PAD src0_sel:DWORD src1_sel:WORD_1
	v_fmac_f16_e32 v88, v98, v110
	s_waitcnt vmcnt(2)
	v_mul_f16_sdwa v98, v97, v117 dst_sel:DWORD dst_unused:UNUSED_PAD src0_sel:DWORD src1_sel:WORD_1
	v_fma_f16 v94, v94, v112, -v100
	v_lshrrev_b32_e32 v100, 16, v96
	v_fmac_f16_e32 v99, v85, v112
	v_lshrrev_b32_e32 v85, 16, v92
	v_fma_f16 v98, v90, v117, -v98
	v_mul_f16_sdwa v90, v90, v117 dst_sel:DWORD dst_unused:UNUSED_PAD src0_sel:DWORD src1_sel:WORD_1
	s_waitcnt vmcnt(1)
	v_mul_f16_sdwa v101, v100, v120 dst_sel:DWORD dst_unused:UNUSED_PAD src0_sel:DWORD src1_sel:WORD_1
	v_mul_f16_sdwa v102, v96, v120 dst_sel:DWORD dst_unused:UNUSED_PAD src0_sel:DWORD src1_sel:WORD_1
	v_pack_b32_f16 v95, v95, v104
	s_waitcnt vmcnt(0)
	v_mul_f16_sdwa v103, v85, v119 dst_sel:DWORD dst_unused:UNUSED_PAD src0_sel:DWORD src1_sel:WORD_1
	v_mul_f16_sdwa v104, v92, v119 dst_sel:DWORD dst_unused:UNUSED_PAD src0_sel:DWORD src1_sel:WORD_1
	v_fmac_f16_e32 v90, v97, v117
	v_fma_f16 v96, v96, v120, -v101
	v_fmac_f16_e32 v102, v100, v120
	v_fma_f16 v92, v92, v119, -v103
	v_fmac_f16_e32 v104, v85, v119
	v_pack_b32_f16 v85, v91, v88
	v_pack_b32_f16 v88, v94, v99
	;; [unrolled: 1-line block ×5, first 2 shown]
	ds_write2st64_b32 v52, v87, v85 offset0:112 offset1:120
	ds_write2st64_b32 v52, v93, v88 offset0:144 offset1:152
	;; [unrolled: 1-line block ×5, first 2 shown]
	s_waitcnt lgkmcnt(0)
	s_barrier
	buffer_gl0_inv
	ds_read2st64_b32 v[88:89], v52 offset1:8
	ds_read2st64_b32 v[92:93], v52 offset0:64 offset1:72
	ds_read2st64_b32 v[94:95], v52 offset0:32 offset1:40
	;; [unrolled: 1-line block ×7, first 2 shown]
	s_waitcnt lgkmcnt(7)
	v_lshrrev_b32_e32 v85, 16, v88
	s_waitcnt lgkmcnt(6)
	v_lshrrev_b32_e32 v86, 16, v92
	;; [unrolled: 2-line block ×4, first 2 shown]
	s_waitcnt lgkmcnt(3)
	v_sub_f16_sdwa v91, v85, v98 dst_sel:DWORD dst_unused:UNUSED_PAD src0_sel:DWORD src1_sel:WORD_1
	s_waitcnt lgkmcnt(2)
	v_sub_f16_sdwa v106, v86, v100 dst_sel:DWORD dst_unused:UNUSED_PAD src0_sel:DWORD src1_sel:WORD_1
	;; [unrolled: 2-line block ×4, first 2 shown]
	v_sub_f16_e32 v98, v88, v98
	v_sub_f16_e32 v100, v92, v100
	;; [unrolled: 1-line block ×4, first 2 shown]
	v_fma_f16 v85, v85, 2.0, -v91
	v_fma_f16 v86, v86, 2.0, -v106
	;; [unrolled: 1-line block ×6, first 2 shown]
	v_add_f16_e32 v106, v98, v106
	v_sub_f16_e32 v100, v91, v100
	v_add_f16_e32 v108, v102, v108
	v_sub_f16_e32 v109, v107, v104
	v_fma_f16 v94, v94, 2.0, -v102
	v_fma_f16 v96, v96, 2.0, -v104
	v_sub_f16_e32 v92, v88, v92
	v_sub_f16_e32 v86, v85, v86
	;; [unrolled: 1-line block ×3, first 2 shown]
	v_fma_f16 v102, v102, 2.0, -v108
	v_sub_f16_e32 v96, v94, v96
	v_fma_f16 v107, v107, 2.0, -v109
	v_fma_f16 v98, v98, 2.0, -v106
	;; [unrolled: 1-line block ×3, first 2 shown]
	v_add_f16_e32 v117, v92, v90
	v_sub_f16_e32 v137, v86, v96
	v_fma_f16 v94, v94, 2.0, -v96
	v_fmamk_f16 v96, v102, 0xb9a8, v98
	v_fma_f16 v87, v87, 2.0, -v90
	v_fmamk_f16 v90, v107, 0xb9a8, v91
	v_fmamk_f16 v104, v108, 0x39a8, v106
	v_fmamk_f16 v112, v109, 0x39a8, v100
	v_fmac_f16_e32 v96, 0x39a8, v107
	v_fma_f16 v88, v88, 2.0, -v92
	v_fmac_f16_e32 v90, 0xb9a8, v102
	v_fmac_f16_e32 v104, 0x39a8, v109
	;; [unrolled: 1-line block ×3, first 2 shown]
	v_fma_f16 v92, v92, 2.0, -v117
	v_fma_f16 v85, v85, 2.0, -v86
	;; [unrolled: 1-line block ×7, first 2 shown]
	v_sub_f16_e32 v94, v88, v94
	v_sub_f16_e32 v102, v85, v87
	v_pack_b32_f16 v87, v92, v86
	v_pack_b32_f16 v86, v98, v91
	;; [unrolled: 1-line block ×3, first 2 shown]
	v_lshrrev_b32_e32 v98, 16, v89
	v_pack_b32_f16 v91, v117, v137
	v_lshrrev_b32_e32 v112, 16, v95
	v_lshrrev_b32_e32 v137, 16, v97
	v_fma_f16 v107, v88, 2.0, -v94
	v_pack_b32_f16 v88, v106, v100
	v_sub_f16_e32 v100, v89, v99
	v_lshrrev_b32_e32 v104, 16, v93
	v_pack_b32_f16 v90, v96, v90
	v_sub_f16_sdwa v96, v98, v99 dst_sel:DWORD dst_unused:UNUSED_PAD src0_sel:DWORD src1_sel:WORD_1
	v_sub_f16_e32 v99, v93, v101
	v_sub_f16_e32 v117, v95, v103
	;; [unrolled: 1-line block ×3, first 2 shown]
	v_sub_f16_sdwa v103, v112, v103 dst_sel:DWORD dst_unused:UNUSED_PAD src0_sel:DWORD src1_sel:WORD_1
	v_sub_f16_sdwa v105, v137, v105 dst_sel:DWORD dst_unused:UNUSED_PAD src0_sel:DWORD src1_sel:WORD_1
	v_fma_f16 v89, v89, 2.0, -v100
	v_sub_f16_sdwa v101, v104, v101 dst_sel:DWORD dst_unused:UNUSED_PAD src0_sel:DWORD src1_sel:WORD_1
	v_fma_f16 v93, v93, 2.0, -v99
	v_fma_f16 v112, v112, 2.0, -v103
	v_add_f16_e32 v140, v117, v105
	v_fma_f16 v105, v137, 2.0, -v105
	v_fma_f16 v95, v95, 2.0, -v117
	;; [unrolled: 1-line block ×4, first 2 shown]
	v_add_f16_e32 v139, v100, v101
	v_sub_f16_e32 v99, v96, v99
	v_sub_f16_e32 v138, v103, v138
	v_fma_f16 v101, v104, 2.0, -v101
	v_sub_f16_e32 v93, v89, v93
	v_sub_f16_e32 v105, v112, v105
	v_fmamk_f16 v104, v140, 0x39a8, v139
	v_fmamk_f16 v137, v138, 0x39a8, v99
	v_sub_f16_e32 v101, v98, v101
	v_sub_f16_e32 v97, v95, v97
	v_add_f16_e32 v141, v93, v105
	v_fma_f16 v100, v100, 2.0, -v139
	v_fma_f16 v117, v117, 2.0, -v140
	;; [unrolled: 1-line block ×5, first 2 shown]
	v_fmac_f16_e32 v104, 0x39a8, v138
	v_fmac_f16_e32 v137, 0xb9a8, v140
	v_sub_f16_e32 v138, v101, v97
	v_fma_f16 v140, v93, 2.0, -v141
	v_fmamk_f16 v142, v117, 0xb9a8, v100
	v_fmamk_f16 v143, v103, 0xb9a8, v96
	v_fma_f16 v89, v89, 2.0, -v93
	v_fma_f16 v93, v98, 2.0, -v101
	;; [unrolled: 1-line block ×4, first 2 shown]
	v_pack_b32_f16 v85, v107, v85
	ds_read2st64_b32 v[106:107], v52 offset0:16 offset1:24
	ds_read2st64_b32 v[108:109], v52 offset0:48 offset1:56
	;; [unrolled: 1-line block ×8, first 2 shown]
	v_fma_f16 v98, v99, 2.0, -v137
	v_fmac_f16_e32 v142, 0x39a8, v103
	v_fmac_f16_e32 v143, 0xb9a8, v117
	v_sub_f16_e32 v99, v89, v95
	v_sub_f16_e32 v97, v93, v97
	v_fma_f16 v139, v139, 2.0, -v104
	v_fma_f16 v95, v101, 2.0, -v138
	;; [unrolled: 1-line block ×6, first 2 shown]
	v_pack_b32_f16 v89, v94, v102
	v_pack_b32_f16 v96, v139, v98
	v_pack_b32_f16 v95, v140, v95
	v_pack_b32_f16 v94, v100, v101
	v_pack_b32_f16 v93, v103, v93
	s_waitcnt lgkmcnt(0)
	s_barrier
	buffer_gl0_inv
	ds_write_b128 v113, v[85:88]
	ds_write_b128 v113, v[89:92] offset:16
	ds_write_b128 v113, v[93:96] offset:16384
	v_lshrrev_b32_e32 v91, 16, v108
	v_lshrrev_b32_e32 v92, 16, v119
	;; [unrolled: 1-line block ×4, first 2 shown]
	v_sub_f16_e32 v93, v106, v129
	v_sub_f16_e32 v94, v110, v133
	v_sub_f16_sdwa v96, v91, v131 dst_sel:DWORD dst_unused:UNUSED_PAD src0_sel:DWORD src1_sel:WORD_1
	v_sub_f16_sdwa v98, v92, v135 dst_sel:DWORD dst_unused:UNUSED_PAD src0_sel:DWORD src1_sel:WORD_1
	;; [unrolled: 1-line block ×4, first 2 shown]
	v_fma_f16 v100, v106, 2.0, -v93
	v_fma_f16 v101, v110, 2.0, -v94
	;; [unrolled: 1-line block ×3, first 2 shown]
	v_sub_f16_e32 v102, v108, v131
	v_sub_f16_e32 v103, v119, v135
	v_fma_f16 v92, v92, 2.0, -v98
	v_pack_b32_f16 v88, v104, v137
	v_fma_f16 v85, v85, 2.0, -v90
	v_fma_f16 v89, v89, 2.0, -v95
	v_add_f16_e32 v95, v93, v95
	v_sub_f16_e32 v94, v90, v94
	v_add_f16_e32 v98, v102, v98
	v_sub_f16_e32 v104, v96, v103
	v_sub_f16_e32 v101, v100, v101
	v_fma_f16 v105, v108, 2.0, -v102
	v_fma_f16 v103, v119, 2.0, -v103
	v_sub_f16_e32 v92, v91, v92
	v_fmamk_f16 v106, v98, 0x39a8, v95
	v_fmamk_f16 v108, v104, 0x39a8, v94
	v_sub_f16_e32 v89, v85, v89
	v_sub_f16_e32 v103, v105, v103
	v_add_f16_e32 v110, v101, v92
	v_fma_f16 v90, v90, 2.0, -v94
	v_fma_f16 v96, v96, 2.0, -v104
	v_fmac_f16_e32 v106, 0x39a8, v104
	v_fmac_f16_e32 v108, 0xb9a8, v98
	v_fma_f16 v93, v93, 2.0, -v95
	v_fma_f16 v98, v102, 2.0, -v98
	;; [unrolled: 1-line block ×3, first 2 shown]
	v_fmamk_f16 v117, v96, 0xb9a8, v90
	v_fma_f16 v100, v100, 2.0, -v101
	v_fma_f16 v85, v85, 2.0, -v89
	v_fma_f16 v101, v105, 2.0, -v103
	v_fma_f16 v91, v91, 2.0, -v92
	v_sub_f16_e32 v102, v89, v103
	v_fmamk_f16 v112, v98, 0xb9a8, v93
	v_fmac_f16_e32 v117, 0xb9a8, v98
	v_sub_f16_e32 v98, v100, v101
	v_sub_f16_e32 v101, v85, v91
	v_fma_f16 v95, v95, 2.0, -v106
	v_fma_f16 v92, v94, 2.0, -v108
	v_fmac_f16_e32 v112, 0x39a8, v96
	v_fma_f16 v89, v89, 2.0, -v102
	v_fma_f16 v94, v100, 2.0, -v98
	;; [unrolled: 1-line block ×5, first 2 shown]
	v_pack_b32_f16 v85, v99, v97
	v_pack_b32_f16 v92, v95, v92
	;; [unrolled: 1-line block ×4, first 2 shown]
	v_sub_f16_e32 v97, v107, v130
	v_pack_b32_f16 v96, v106, v108
	v_lshrrev_b32_e32 v94, 16, v111
	v_pack_b32_f16 v95, v110, v102
	v_sub_f16_e32 v102, v111, v134
	v_lshrrev_b32_e32 v104, 16, v109
	v_lshrrev_b32_e32 v106, 16, v120
	v_pack_b32_f16 v90, v93, v90
	v_lshrrev_b32_e32 v93, 16, v107
	v_fma_f16 v100, v107, 2.0, -v97
	v_sub_f16_sdwa v103, v94, v134 dst_sel:DWORD dst_unused:UNUSED_PAD src0_sel:DWORD src1_sel:WORD_1
	v_sub_f16_e32 v105, v109, v132
	v_sub_f16_e32 v107, v120, v136
	v_fma_f16 v108, v111, 2.0, -v102
	v_sub_f16_sdwa v110, v104, v132 dst_sel:DWORD dst_unused:UNUSED_PAD src0_sel:DWORD src1_sel:WORD_1
	v_sub_f16_sdwa v111, v106, v136 dst_sel:DWORD dst_unused:UNUSED_PAD src0_sel:DWORD src1_sel:WORD_1
	;; [unrolled: 1-line block ×3, first 2 shown]
	v_fma_f16 v119, v120, 2.0, -v107
	v_fma_f16 v94, v94, 2.0, -v103
	;; [unrolled: 1-line block ×3, first 2 shown]
	v_add_f16_e32 v103, v97, v103
	v_add_f16_e32 v120, v105, v111
	v_fma_f16 v106, v106, 2.0, -v111
	v_fma_f16 v109, v109, 2.0, -v105
	;; [unrolled: 1-line block ×3, first 2 shown]
	v_sub_f16_e32 v102, v99, v102
	v_sub_f16_e32 v107, v110, v107
	;; [unrolled: 1-line block ×3, first 2 shown]
	v_fmamk_f16 v129, v120, 0x39a8, v103
	v_sub_f16_e32 v106, v104, v106
	v_sub_f16_e32 v111, v93, v94
	v_fmamk_f16 v130, v107, 0x39a8, v102
	v_sub_f16_e32 v119, v109, v119
	v_pack_b32_f16 v94, v112, v117
	v_fmac_f16_e32 v129, 0x39a8, v107
	v_add_f16_e32 v112, v108, v106
	v_fma_f16 v97, v97, 2.0, -v103
	v_fma_f16 v105, v105, 2.0, -v120
	;; [unrolled: 1-line block ×4, first 2 shown]
	v_fmac_f16_e32 v130, 0xb9a8, v120
	v_fma_f16 v110, v108, 2.0, -v112
	v_fmamk_f16 v120, v105, 0xb9a8, v97
	v_fma_f16 v100, v100, 2.0, -v108
	v_fmamk_f16 v108, v107, 0xb9a8, v99
	v_fma_f16 v93, v93, 2.0, -v111
	v_fma_f16 v109, v109, 2.0, -v119
	;; [unrolled: 1-line block ×3, first 2 shown]
	v_sub_f16_e32 v117, v111, v119
	v_fmac_f16_e32 v120, 0x39a8, v107
	v_fmac_f16_e32 v108, 0xb9a8, v105
	v_sub_f16_e32 v105, v100, v109
	v_sub_f16_e32 v106, v93, v104
	v_fma_f16 v103, v103, 2.0, -v129
	v_fma_f16 v102, v102, 2.0, -v130
	;; [unrolled: 1-line block ×7, first 2 shown]
	v_pack_b32_f16 v87, v141, v138
	v_pack_b32_f16 v86, v142, v143
	;; [unrolled: 1-line block ×11, first 2 shown]
	ds_write_b128 v114, v[85:88] offset:16
	ds_write_b128 v113, v[89:92] offset:32768
	;; [unrolled: 1-line block ×5, first 2 shown]
	s_waitcnt lgkmcnt(0)
	s_barrier
	buffer_gl0_inv
	ds_read2st64_b32 v[85:86], v52 offset0:16 offset1:24
	ds_read2st64_b32 v[87:88], v52 offset0:32 offset1:40
	;; [unrolled: 1-line block ×7, first 2 shown]
	s_waitcnt lgkmcnt(6)
	v_lshrrev_b32_e32 v99, 16, v85
	v_lshrrev_b32_e32 v106, 16, v86
	s_waitcnt lgkmcnt(5)
	v_lshrrev_b32_e32 v100, 16, v87
	v_mul_f16_sdwa v102, v9, v85 dst_sel:DWORD dst_unused:UNUSED_PAD src0_sel:WORD_1 src1_sel:DWORD
	v_lshrrev_b32_e32 v107, 16, v88
	v_mul_f16_sdwa v109, v9, v99 dst_sel:DWORD dst_unused:UNUSED_PAD src0_sel:WORD_1 src1_sel:DWORD
	s_waitcnt lgkmcnt(4)
	v_lshrrev_b32_e32 v108, 16, v90
	v_mul_f16_sdwa v111, v10, v87 dst_sel:DWORD dst_unused:UNUSED_PAD src0_sel:WORD_1 src1_sel:DWORD
	v_mul_f16_sdwa v112, v10, v100 dst_sel:DWORD dst_unused:UNUSED_PAD src0_sel:WORD_1 src1_sel:DWORD
	v_lshrrev_b32_e32 v101, 16, v89
	v_fmac_f16_e32 v109, v9, v85
	v_mul_f16_sdwa v85, v9, v106 dst_sel:DWORD dst_unused:UNUSED_PAD src0_sel:WORD_1 src1_sel:DWORD
	s_waitcnt lgkmcnt(3)
	v_lshrrev_b32_e32 v103, 16, v91
	v_fma_f16 v102, v9, v99, -v102
	v_fma_f16 v111, v10, v100, -v111
	v_mul_f16_sdwa v99, v11, v89 dst_sel:DWORD dst_unused:UNUSED_PAD src0_sel:WORD_1 src1_sel:DWORD
	v_fmac_f16_e32 v85, v9, v86
	v_mul_f16_sdwa v86, v9, v86 dst_sel:DWORD dst_unused:UNUSED_PAD src0_sel:WORD_1 src1_sel:DWORD
	v_mul_f16_sdwa v100, v12, v91 dst_sel:DWORD dst_unused:UNUSED_PAD src0_sel:WORD_1 src1_sel:DWORD
	v_fmac_f16_e32 v112, v10, v87
	v_mul_f16_sdwa v87, v10, v107 dst_sel:DWORD dst_unused:UNUSED_PAD src0_sel:WORD_1 src1_sel:DWORD
	v_mul_f16_sdwa v113, v11, v101 dst_sel:DWORD dst_unused:UNUSED_PAD src0_sel:WORD_1 src1_sel:DWORD
	v_fma_f16 v9, v9, v106, -v86
	v_mul_f16_sdwa v86, v11, v108 dst_sel:DWORD dst_unused:UNUSED_PAD src0_sel:WORD_1 src1_sel:DWORD
	v_fma_f16 v114, v11, v101, -v99
	v_fma_f16 v115, v12, v103, -v100
	v_mul_f16_sdwa v116, v12, v103 dst_sel:DWORD dst_unused:UNUSED_PAD src0_sel:WORD_1 src1_sel:DWORD
	v_fmac_f16_e32 v87, v10, v88
	v_mul_f16_sdwa v88, v10, v88 dst_sel:DWORD dst_unused:UNUSED_PAD src0_sel:WORD_1 src1_sel:DWORD
	v_fmac_f16_e32 v86, v11, v90
	v_mul_f16_sdwa v90, v11, v90 dst_sel:DWORD dst_unused:UNUSED_PAD src0_sel:WORD_1 src1_sel:DWORD
	ds_read2st64_b32 v[99:100], v52 offset0:128 offset1:136
	s_waitcnt lgkmcnt(3)
	v_lshrrev_b32_e32 v104, 16, v93
	v_lshrrev_b32_e32 v110, 16, v92
	v_fmac_f16_e32 v113, v11, v89
	v_fmac_f16_e32 v116, v12, v91
	v_mul_f16_sdwa v91, v12, v92 dst_sel:DWORD dst_unused:UNUSED_PAD src0_sel:WORD_1 src1_sel:DWORD
	v_fma_f16 v88, v10, v107, -v88
	v_fma_f16 v10, v11, v108, -v90
	v_mul_f16_sdwa v11, v5, v93 dst_sel:DWORD dst_unused:UNUSED_PAD src0_sel:WORD_1 src1_sel:DWORD
	s_waitcnt lgkmcnt(2)
	v_lshrrev_b32_e32 v105, 16, v95
	v_mul_f16_sdwa v89, v12, v110 dst_sel:DWORD dst_unused:UNUSED_PAD src0_sel:WORD_1 src1_sel:DWORD
	s_waitcnt lgkmcnt(1)
	v_lshrrev_b32_e32 v101, 16, v97
	v_lshrrev_b32_e32 v106, 16, v94
	v_mul_f16_sdwa v117, v5, v104 dst_sel:DWORD dst_unused:UNUSED_PAD src0_sel:WORD_1 src1_sel:DWORD
	v_fma_f16 v91, v12, v110, -v91
	v_lshrrev_b32_e32 v107, 16, v96
	v_mul_f16_sdwa v90, v6, v95 dst_sel:DWORD dst_unused:UNUSED_PAD src0_sel:WORD_1 src1_sel:DWORD
	v_fma_f16 v110, v5, v104, -v11
	ds_read2st64_b32 v[103:104], v52 offset0:144 offset1:152
	v_fmac_f16_e32 v89, v12, v92
	v_mul_f16_sdwa v11, v7, v97 dst_sel:DWORD dst_unused:UNUSED_PAD src0_sel:WORD_1 src1_sel:DWORD
	v_mul_f16_sdwa v12, v5, v106 dst_sel:DWORD dst_unused:UNUSED_PAD src0_sel:WORD_1 src1_sel:DWORD
	;; [unrolled: 1-line block ×3, first 2 shown]
	v_fma_f16 v120, v6, v105, -v90
	v_mul_f16_sdwa v129, v7, v101 dst_sel:DWORD dst_unused:UNUSED_PAD src0_sel:WORD_1 src1_sel:DWORD
	v_mul_f16_sdwa v90, v6, v107 dst_sel:DWORD dst_unused:UNUSED_PAD src0_sel:WORD_1 src1_sel:DWORD
	v_lshrrev_b32_e32 v108, 16, v98
	v_fmac_f16_e32 v117, v5, v93
	v_fma_f16 v130, v7, v101, -v11
	v_fmac_f16_e32 v12, v5, v94
	v_mul_f16_sdwa v93, v5, v94 dst_sel:DWORD dst_unused:UNUSED_PAD src0_sel:WORD_1 src1_sel:DWORD
	v_fmac_f16_e32 v119, v6, v95
	s_waitcnt lgkmcnt(1)
	v_lshrrev_b32_e32 v94, 16, v99
	v_lshrrev_b32_e32 v95, 16, v100
	v_fmac_f16_e32 v129, v7, v97
	v_fmac_f16_e32 v90, v6, v96
	v_mul_f16_sdwa v101, v6, v96 dst_sel:DWORD dst_unused:UNUSED_PAD src0_sel:WORD_1 src1_sel:DWORD
	ds_read2st64_b32 v[96:97], v52 offset0:160 offset1:168
	v_mul_f16_sdwa v11, v7, v108 dst_sel:DWORD dst_unused:UNUSED_PAD src0_sel:WORD_1 src1_sel:DWORD
	v_mul_f16_sdwa v131, v8, v94 dst_sel:DWORD dst_unused:UNUSED_PAD src0_sel:WORD_1 src1_sel:DWORD
	;; [unrolled: 1-line block ×5, first 2 shown]
	v_fmac_f16_e32 v11, v7, v98
	v_fmac_f16_e32 v131, v8, v99
	;; [unrolled: 1-line block ×3, first 2 shown]
	v_mul_f16_sdwa v100, v8, v100 dst_sel:DWORD dst_unused:UNUSED_PAD src0_sel:WORD_1 src1_sel:DWORD
	v_fma_f16 v133, v8, v94, -v105
	ds_read2st64_b32 v[98:99], v52 offset0:176 offset1:184
	s_waitcnt lgkmcnt(2)
	v_lshrrev_b32_e32 v94, 16, v103
	v_fma_f16 v5, v5, v106, -v93
	v_fma_f16 v93, v6, v107, -v101
	;; [unrolled: 1-line block ×3, first 2 shown]
	v_lshrrev_b32_e32 v132, 16, v104
	v_mul_f16_sdwa v105, v1, v103 dst_sel:DWORD dst_unused:UNUSED_PAD src0_sel:WORD_1 src1_sel:DWORD
	v_fma_f16 v8, v8, v95, -v100
	v_mul_f16_sdwa v134, v1, v94 dst_sel:DWORD dst_unused:UNUSED_PAD src0_sel:WORD_1 src1_sel:DWORD
	ds_read2st64_b32 v[100:101], v52 offset0:192 offset1:200
	v_mul_f16_sdwa v7, v1, v132 dst_sel:DWORD dst_unused:UNUSED_PAD src0_sel:WORD_1 src1_sel:DWORD
	v_fma_f16 v135, v1, v94, -v105
	s_waitcnt lgkmcnt(2)
	v_lshrrev_b32_e32 v94, 16, v96
	v_fmac_f16_e32 v134, v1, v103
	v_mul_f16_sdwa v103, v2, v96 dst_sel:DWORD dst_unused:UNUSED_PAD src0_sel:WORD_1 src1_sel:DWORD
	v_fmac_f16_e32 v7, v1, v104
	v_mul_f16_sdwa v138, v1, v104 dst_sel:DWORD dst_unused:UNUSED_PAD src0_sel:WORD_1 src1_sel:DWORD
	v_mul_f16_sdwa v137, v2, v94 dst_sel:DWORD dst_unused:UNUSED_PAD src0_sel:WORD_1 src1_sel:DWORD
	v_lshrrev_b32_e32 v136, 16, v97
	v_fma_f16 v139, v2, v94, -v103
	ds_read2st64_b32 v[103:104], v52 offset0:208 offset1:216
	s_waitcnt lgkmcnt(2)
	v_lshrrev_b32_e32 v94, 16, v98
	v_fmac_f16_e32 v137, v2, v96
	v_mul_f16_sdwa v96, v3, v98 dst_sel:DWORD dst_unused:UNUSED_PAD src0_sel:WORD_1 src1_sel:DWORD
	v_lshrrev_b32_e32 v142, 16, v99
	ds_read2st64_b32 v[105:106], v52 offset0:224 offset1:232
	v_mul_f16_sdwa v95, v2, v136 dst_sel:DWORD dst_unused:UNUSED_PAD src0_sel:WORD_1 src1_sel:DWORD
	v_mul_f16_sdwa v140, v2, v97 dst_sel:DWORD dst_unused:UNUSED_PAD src0_sel:WORD_1 src1_sel:DWORD
	;; [unrolled: 1-line block ×3, first 2 shown]
	s_waitcnt lgkmcnt(2)
	v_lshrrev_b32_e32 v143, 16, v100
	v_fma_f16 v144, v3, v94, -v96
	v_mul_f16_sdwa v94, v3, v142 dst_sel:DWORD dst_unused:UNUSED_PAD src0_sel:WORD_1 src1_sel:DWORD
	v_mul_f16_sdwa v96, v4, v100 dst_sel:DWORD dst_unused:UNUSED_PAD src0_sel:WORD_1 src1_sel:DWORD
	v_fmac_f16_e32 v95, v2, v97
	v_fmac_f16_e32 v141, v3, v98
	v_mul_f16_sdwa v146, v4, v143 dst_sel:DWORD dst_unused:UNUSED_PAD src0_sel:WORD_1 src1_sel:DWORD
	v_fmac_f16_e32 v94, v3, v99
	v_mul_f16_sdwa v98, v3, v99 dst_sel:DWORD dst_unused:UNUSED_PAD src0_sel:WORD_1 src1_sel:DWORD
	ds_read2st64_b32 v[107:108], v52 offset0:240 offset1:248
	v_fma_f16 v143, v4, v143, -v96
	v_fma_f16 v96, v1, v132, -v138
	;; [unrolled: 1-line block ×3, first 2 shown]
	ds_read2st64_b32 v[1:2], v52 offset1:8
	v_lshrrev_b32_e32 v145, 16, v101
	v_fma_f16 v3, v3, v142, -v98
	s_waitcnt lgkmcnt(3)
	v_lshrrev_b32_e32 v98, 16, v103
	s_waitcnt lgkmcnt(2)
	v_lshrrev_b32_e32 v138, 16, v105
	v_fmac_f16_e32 v146, v4, v100
	v_mul_f16_sdwa v97, v4, v145 dst_sel:DWORD dst_unused:UNUSED_PAD src0_sel:WORD_1 src1_sel:DWORD
	v_mul_f16_sdwa v100, v4, v101 dst_sel:DWORD dst_unused:UNUSED_PAD src0_sel:WORD_1 src1_sel:DWORD
	;; [unrolled: 1-line block ×3, first 2 shown]
	v_sub_f16_e32 v139, v111, v139
	v_sub_f16_e32 v137, v112, v137
	v_fmac_f16_e32 v97, v4, v101
	v_mul_f16_sdwa v101, v17, v103 dst_sel:DWORD dst_unused:UNUSED_PAD src0_sel:WORD_1 src1_sel:DWORD
	v_fmac_f16_e32 v136, v17, v103
	v_mul_f16_sdwa v103, v18, v138 dst_sel:DWORD dst_unused:UNUSED_PAD src0_sel:WORD_1 src1_sel:DWORD
	v_fma_f16 v100, v4, v145, -v100
	s_waitcnt lgkmcnt(1)
	v_lshrrev_b32_e32 v145, 16, v107
	v_mul_f16_sdwa v149, v19, v107 dst_sel:DWORD dst_unused:UNUSED_PAD src0_sel:WORD_1 src1_sel:DWORD
	v_sub_f16_e32 v143, v115, v143
	v_fmac_f16_e32 v103, v18, v105
	v_mul_f16_sdwa v105, v18, v105 dst_sel:DWORD dst_unused:UNUSED_PAD src0_sel:WORD_1 src1_sel:DWORD
	s_waitcnt lgkmcnt(0)
	v_lshrrev_b32_e32 v150, 16, v1
	v_mul_f16_sdwa v148, v19, v145 dst_sel:DWORD dst_unused:UNUSED_PAD src0_sel:WORD_1 src1_sel:DWORD
	v_sub_f16_e32 v131, v1, v131
	v_sub_f16_e32 v103, v119, v103
	v_fma_f16 v105, v18, v138, -v105
	v_sub_f16_e32 v133, v150, v133
	v_sub_f16_e32 v138, v116, v146
	v_fmac_f16_e32 v148, v19, v107
	v_fma_f16 v107, v19, v145, -v149
	v_sub_f16_e32 v105, v120, v105
	v_fma_f16 v145, v150, 2.0, -v133
	v_sub_f16_e32 v150, v133, v138
	v_sub_f16_e32 v151, v139, v103
	v_add_f16_e32 v149, v131, v143
	v_add_f16_e32 v146, v137, v105
	v_fma_f16 v142, v17, v98, -v101
	v_fma_f16 v133, v133, 2.0, -v150
	v_fma_f16 v153, v139, 2.0, -v151
	;; [unrolled: 1-line block ×6, first 2 shown]
	v_fmamk_f16 v119, v153, 0xb9a8, v133
	v_fma_f16 v112, v112, 2.0, -v137
	v_fma_f16 v105, v120, 2.0, -v105
	v_fmamk_f16 v137, v138, 0xb9a8, v152
	v_fma_f16 v111, v111, 2.0, -v139
	v_sub_f16_e32 v120, v109, v134
	v_fmac_f16_e32 v119, 0xb9a8, v138
	v_sub_f16_e32 v134, v117, v136
	v_sub_f16_e32 v136, v110, v142
	;; [unrolled: 1-line block ×7, first 2 shown]
	v_fma_f16 v115, v115, 2.0, -v143
	v_fma_f16 v117, v117, 2.0, -v134
	v_add_f16_e32 v142, v120, v136
	v_add_f16_e32 v143, v138, v107
	v_sub_f16_e32 v134, v135, v134
	v_sub_f16_e32 v144, v139, v141
	v_fmac_f16_e32 v137, 0x39a8, v153
	v_fma_f16 v109, v109, 2.0, -v120
	v_fma_f16 v110, v110, 2.0, -v136
	;; [unrolled: 1-line block ×12, first 2 shown]
	v_fmamk_f16 v130, v136, 0xb9a8, v120
	v_fmamk_f16 v138, v153, 0xb9a8, v148
	v_sub_f16_e32 v116, v1, v116
	v_sub_f16_e32 v115, v145, v115
	;; [unrolled: 1-line block ×8, first 2 shown]
	v_fmac_f16_e32 v130, 0x39a8, v153
	v_fmac_f16_e32 v138, 0xb9a8, v136
	v_fma_f16 v1, v1, 2.0, -v116
	v_fma_f16 v135, v145, 2.0, -v115
	;; [unrolled: 1-line block ×8, first 2 shown]
	v_lshrrev_b32_e32 v132, 16, v104
	v_fma_f16 v131, v152, 2.0, -v137
	v_fma_f16 v120, v120, 2.0, -v130
	v_fma_f16 v133, v133, 2.0, -v119
	v_sub_f16_e32 v112, v1, v112
	v_sub_f16_e32 v111, v135, v111
	;; [unrolled: 1-line block ×4, first 2 shown]
	v_fma_f16 v136, v148, 2.0, -v138
	v_mul_f16_sdwa v4, v17, v132 dst_sel:DWORD dst_unused:UNUSED_PAD src0_sel:WORD_1 src1_sel:DWORD
	v_lshrrev_b32_e32 v140, 16, v106
	v_lshrrev_b32_e32 v147, 16, v108
	v_fma_f16 v139, v1, 2.0, -v112
	v_fma_f16 v135, v135, 2.0, -v111
	;; [unrolled: 1-line block ×4, first 2 shown]
	v_fmamk_f16 v1, v120, 0xbb64, v131
	v_fmamk_f16 v102, v136, 0xbb64, v133
	v_fmac_f16_e32 v4, v17, v104
	v_mul_f16_sdwa v101, v18, v140 dst_sel:DWORD dst_unused:UNUSED_PAD src0_sel:WORD_1 src1_sel:DWORD
	v_mul_f16_sdwa v104, v17, v104 dst_sel:DWORD dst_unused:UNUSED_PAD src0_sel:WORD_1 src1_sel:DWORD
	;; [unrolled: 1-line block ×3, first 2 shown]
	v_sub_f16_e32 v109, v139, v109
	v_sub_f16_e32 v141, v135, v141
	v_fmac_f16_e32 v1, 0x361f, v136
	v_fmac_f16_e32 v102, 0xb61f, v120
	;; [unrolled: 1-line block ×3, first 2 shown]
	v_mul_f16_sdwa v106, v18, v106 dst_sel:DWORD dst_unused:UNUSED_PAD src0_sel:WORD_1 src1_sel:DWORD
	v_fmac_f16_e32 v98, v19, v108
	v_mul_f16_sdwa v108, v19, v108 dst_sel:DWORD dst_unused:UNUSED_PAD src0_sel:WORD_1 src1_sel:DWORD
	v_fma_f16 v17, v17, v132, -v104
	v_fma_f16 v104, v139, 2.0, -v109
	v_fma_f16 v120, v135, 2.0, -v141
	v_fma_f16 v131, v131, 2.0, -v1
	v_fma_f16 v132, v133, 2.0, -v102
	v_fmamk_f16 v133, v146, 0x39a8, v149
	v_fma_f16 v18, v18, v140, -v106
	v_fma_f16 v19, v19, v147, -v108
	v_pack_b32_f16 v104, v104, v120
	v_pack_b32_f16 v106, v131, v132
	v_fmamk_f16 v108, v151, 0x39a8, v150
	v_fmamk_f16 v120, v143, 0x39a8, v142
	v_add_f16_e32 v105, v116, v105
	v_add_f16_e32 v107, v117, v107
	v_sub_f16_e32 v103, v115, v103
	v_sub_f16_e32 v129, v110, v129
	v_fmamk_f16 v131, v144, 0x39a8, v134
	v_fmac_f16_e32 v133, 0x39a8, v151
	v_fma_f16 v116, v116, 2.0, -v105
	v_fma_f16 v117, v117, 2.0, -v107
	;; [unrolled: 1-line block ×4, first 2 shown]
	v_fmac_f16_e32 v108, 0xb9a8, v146
	v_fmac_f16_e32 v120, 0x39a8, v144
	;; [unrolled: 1-line block ×3, first 2 shown]
	v_fmamk_f16 v132, v117, 0xb9a8, v116
	v_fmamk_f16 v135, v110, 0xb9a8, v115
	v_fma_f16 v136, v149, 2.0, -v133
	v_fma_f16 v139, v142, 2.0, -v120
	;; [unrolled: 1-line block ×4, first 2 shown]
	v_fmac_f16_e32 v132, 0x39a8, v110
	v_fmac_f16_e32 v135, 0xb9a8, v117
	v_fmamk_f16 v110, v139, 0xb61f, v136
	v_fmamk_f16 v117, v134, 0xb61f, v140
	v_fma_f16 v116, v116, 2.0, -v132
	v_fma_f16 v115, v115, 2.0, -v135
	v_fmac_f16_e32 v110, 0x3b64, v134
	s_barrier
	v_fmac_f16_e32 v117, 0xbb64, v139
	buffer_gl0_inv
	ds_write2_b32 v84, v104, v106 offset1:8
	v_pack_b32_f16 v104, v116, v115
	v_fma_f16 v106, v136, 2.0, -v110
	v_fma_f16 v115, v140, 2.0, -v117
	v_fmamk_f16 v134, v138, 0x361f, v119
	v_fmamk_f16 v116, v130, 0x361f, v137
	;; [unrolled: 1-line block ×3, first 2 shown]
	v_add_f16_e32 v114, v112, v114
	v_pack_b32_f16 v106, v106, v115
	v_fmac_f16_e32 v134, 0xbb64, v130
	v_fmamk_f16 v115, v107, 0x39a8, v105
	v_fmamk_f16 v130, v129, 0x39a8, v103
	v_fmac_f16_e32 v116, 0x3b64, v138
	v_fmamk_f16 v138, v131, 0x3b64, v108
	v_fmac_f16_e32 v136, 0x361f, v131
	v_fmac_f16_e32 v115, 0x39a8, v129
	;; [unrolled: 1-line block ×3, first 2 shown]
	v_sub_f16_e32 v113, v111, v113
	v_fmac_f16_e32 v138, 0xb61f, v120
	v_fma_f16 v107, v119, 2.0, -v134
	v_fma_f16 v105, v105, 2.0, -v115
	;; [unrolled: 1-line block ×7, first 2 shown]
	v_pack_b32_f16 v103, v105, v103
	v_lshrrev_b32_e32 v105, 16, v2
	v_fma_f16 v137, v137, 2.0, -v116
	ds_write2_b32 v84, v104, v106 offset0:16 offset1:24
	v_pack_b32_f16 v104, v119, v108
	v_sub_f16_e32 v97, v89, v97
	v_sub_f16_e32 v8, v105, v8
	;; [unrolled: 1-line block ×4, first 2 shown]
	v_pack_b32_f16 v111, v112, v111
	v_pack_b32_f16 v107, v137, v107
	v_sub_f16_e32 v92, v2, v92
	ds_write2_b32 v84, v103, v104 offset0:48 offset1:56
	v_sub_f16_e32 v100, v91, v100
	v_fma_f16 v89, v89, 2.0, -v97
	v_sub_f16_e32 v95, v87, v95
	v_sub_f16_e32 v18, v93, v18
	;; [unrolled: 1-line block ×4, first 2 shown]
	ds_write2_b32 v84, v111, v107 offset0:32 offset1:40
	v_fma_f16 v91, v91, 2.0, -v100
	v_add_f16_e32 v100, v92, v100
	v_add_f16_e32 v103, v95, v18
	v_fma_f16 v106, v8, 2.0, -v97
	v_fma_f16 v107, v99, 2.0, -v104
	v_fma_f16 v2, v2, 2.0, -v92
	v_fma_f16 v87, v87, 2.0, -v95
	v_fma_f16 v92, v92, 2.0, -v100
	v_fma_f16 v95, v95, 2.0, -v103
	v_fma_f16 v90, v90, 2.0, -v101
	v_fmamk_f16 v101, v107, 0xb9a8, v106
	v_sub_f16_e32 v7, v85, v7
	v_sub_f16_e32 v17, v5, v17
	;; [unrolled: 1-line block ×4, first 2 shown]
	v_fma_f16 v18, v93, 2.0, -v18
	v_fma_f16 v8, v105, 2.0, -v8
	v_fmamk_f16 v93, v95, 0xb9a8, v92
	v_fmamk_f16 v105, v103, 0x39a8, v100
	;; [unrolled: 1-line block ×3, first 2 shown]
	v_fma_f16 v88, v88, 2.0, -v99
	v_fmac_f16_e32 v101, 0xb9a8, v95
	v_sub_f16_e32 v4, v12, v4
	v_sub_f16_e32 v95, v9, v96
	;; [unrolled: 1-line block ×4, first 2 shown]
	v_add_f16_e32 v98, v7, v17
	v_add_f16_e32 v99, v94, v19
	v_fmac_f16_e32 v93, 0x39a8, v107
	v_fmac_f16_e32 v105, 0x39a8, v104
	;; [unrolled: 1-line block ×3, first 2 shown]
	v_sub_f16_e32 v103, v95, v4
	v_sub_f16_e32 v104, v3, v96
	v_fma_f16 v107, v7, 2.0, -v98
	v_fma_f16 v111, v94, 2.0, -v99
	;; [unrolled: 1-line block ×6, first 2 shown]
	v_fmamk_f16 v12, v111, 0xb9a8, v107
	v_fma_f16 v5, v5, 2.0, -v17
	v_fma_f16 v17, v86, 2.0, -v94
	v_fmamk_f16 v86, v112, 0xb9a8, v85
	v_fma_f16 v6, v6, 2.0, -v19
	v_fmac_f16_e32 v12, 0x39a8, v112
	v_fma_f16 v19, v92, 2.0, -v93
	v_fma_f16 v9, v9, 2.0, -v95
	v_fmac_f16_e32 v86, 0xb9a8, v111
	v_fma_f16 v95, v106, 2.0, -v101
	v_fma_f16 v92, v107, 2.0, -v12
	;; [unrolled: 1-line block ×5, first 2 shown]
	v_sub_f16_e32 v18, v88, v18
	v_fmamk_f16 v106, v92, 0xbb64, v19
	v_sub_f16_e32 v4, v7, v4
	v_sub_f16_e32 v6, v3, v6
	v_fmamk_f16 v10, v85, 0xbb64, v95
	v_fma_f16 v88, v88, 2.0, -v18
	v_fmac_f16_e32 v106, 0x361f, v85
	v_sub_f16_e32 v85, v2, v89
	v_sub_f16_e32 v89, v87, v90
	;; [unrolled: 1-line block ×5, first 2 shown]
	v_add_f16_e32 v18, v85, v18
	v_fma_f16 v3, v3, 2.0, -v6
	v_add_f16_e32 v6, v4, v6
	v_fma_f16 v87, v87, 2.0, -v89
	v_fma_f16 v7, v7, 2.0, -v4
	v_sub_f16_e32 v89, v90, v89
	v_sub_f16_e32 v91, v5, v11
	v_fma_f16 v11, v17, 2.0, -v11
	v_fma_f16 v17, v85, 2.0, -v18
	;; [unrolled: 1-line block ×3, first 2 shown]
	v_fmamk_f16 v94, v99, 0x39a8, v98
	v_fmamk_f16 v96, v104, 0x39a8, v103
	v_fmac_f16_e32 v10, 0xb61f, v92
	v_fma_f16 v2, v2, 2.0, -v85
	v_fma_f16 v85, v90, 2.0, -v89
	;; [unrolled: 1-line block ×4, first 2 shown]
	v_fmamk_f16 v90, v4, 0xb9a8, v17
	v_fmac_f16_e32 v94, 0x39a8, v104
	v_fmac_f16_e32 v96, 0xb9a8, v99
	v_fma_f16 v99, v100, 2.0, -v105
	v_fmamk_f16 v100, v92, 0xb9a8, v85
	v_fma_f16 v5, v9, 2.0, -v5
	v_fmac_f16_e32 v90, 0x39a8, v92
	v_fmamk_f16 v9, v12, 0x361f, v93
	v_fmamk_f16 v92, v86, 0x361f, v101
	v_fma_f16 v98, v98, 2.0, -v94
	v_sub_f16_e32 v11, v7, v11
	v_sub_f16_e32 v3, v5, v3
	v_fmac_f16_e32 v9, 0x3b64, v86
	v_fmac_f16_e32 v92, 0xbb64, v12
	v_sub_f16_e32 v12, v2, v87
	v_sub_f16_e32 v86, v8, v88
	v_fma_f16 v103, v103, 2.0, -v96
	v_fma_f16 v97, v97, 2.0, -v108
	v_fmamk_f16 v104, v98, 0xb61f, v99
	v_fmamk_f16 v107, v91, 0x39a8, v89
	v_fma_f16 v2, v2, 2.0, -v12
	v_fma_f16 v8, v8, 2.0, -v86
	;; [unrolled: 1-line block ×4, first 2 shown]
	v_fmac_f16_e32 v100, 0xb9a8, v4
	v_fmamk_f16 v4, v103, 0xb61f, v97
	v_fmac_f16_e32 v104, 0x3b64, v103
	v_fmamk_f16 v103, v6, 0x39a8, v18
	;; [unrolled: 2-line block ×3, first 2 shown]
	v_fmamk_f16 v87, v96, 0x3b64, v108
	v_sub_f16_e32 v7, v2, v7
	v_sub_f16_e32 v5, v8, v5
	v_fmac_f16_e32 v4, 0xbb64, v98
	v_add_f16_e32 v3, v12, v3
	v_sub_f16_e32 v11, v86, v11
	v_fmac_f16_e32 v103, 0x39a8, v91
	v_fmac_f16_e32 v6, 0x361f, v96
	;; [unrolled: 1-line block ×3, first 2 shown]
	v_pack_b32_f16 v88, v109, v141
	v_pack_b32_f16 v1, v1, v102
	;; [unrolled: 1-line block ×4, first 2 shown]
	v_fma_f16 v2, v2, 2.0, -v7
	v_fma_f16 v8, v8, 2.0, -v5
	;; [unrolled: 1-line block ×16, first 2 shown]
	ds_write2_b32 v84, v88, v1 offset0:64 offset1:72
	ds_write2_b32 v84, v91, v94 offset0:80 offset1:88
	v_pack_b32_f16 v1, v114, v113
	v_pack_b32_f16 v88, v116, v134
	;; [unrolled: 1-line block ×10, first 2 shown]
	ds_write2_b32 v84, v1, v88 offset0:96 offset1:104
	ds_write2_b32 v84, v91, v94 offset0:112 offset1:120
	ds_write2_b32 v122, v2, v8 offset1:8
	ds_write2_b32 v122, v17, v19 offset0:16 offset1:24
	ds_write2_b32 v122, v12, v85 offset0:32 offset1:40
	v_pack_b32_f16 v1, v18, v89
	v_pack_b32_f16 v2, v99, v101
	;; [unrolled: 1-line block ×10, first 2 shown]
	ds_write2_b32 v122, v1, v2 offset0:48 offset1:56
	ds_write2_b32 v122, v5, v7 offset0:64 offset1:72
	;; [unrolled: 1-line block ×5, first 2 shown]
	s_waitcnt lgkmcnt(0)
	s_barrier
	buffer_gl0_inv
	ds_read2st64_b32 v[1:2], v52 offset0:64 offset1:72
	ds_read2st64_b32 v[3:4], v52 offset0:128 offset1:136
	;; [unrolled: 1-line block ×11, first 2 shown]
	s_waitcnt lgkmcnt(10)
	v_lshrrev_b32_e32 v19, 16, v1
	s_waitcnt lgkmcnt(9)
	v_lshrrev_b32_e32 v92, 16, v3
	v_lshrrev_b32_e32 v94, 16, v2
	v_mul_f16_sdwa v110, v20, v1 dst_sel:DWORD dst_unused:UNUSED_PAD src0_sel:WORD_1 src1_sel:DWORD
	s_waitcnt lgkmcnt(8)
	v_lshrrev_b32_e32 v93, 16, v5
	v_mul_f16_sdwa v108, v20, v19 dst_sel:DWORD dst_unused:UNUSED_PAD src0_sel:WORD_1 src1_sel:DWORD
	v_lshrrev_b32_e32 v95, 16, v4
	v_mul_f16_sdwa v112, v20, v94 dst_sel:DWORD dst_unused:UNUSED_PAD src0_sel:WORD_1 src1_sel:DWORD
	v_fma_f16 v19, v20, v19, -v110
	v_mul_f16_sdwa v110, v21, v92 dst_sel:DWORD dst_unused:UNUSED_PAD src0_sel:WORD_1 src1_sel:DWORD
	v_fmac_f16_e32 v108, v20, v1
	v_mul_f16_sdwa v1, v21, v3 dst_sel:DWORD dst_unused:UNUSED_PAD src0_sel:WORD_1 src1_sel:DWORD
	s_waitcnt lgkmcnt(7)
	v_lshrrev_b32_e32 v97, 16, v7
	s_waitcnt lgkmcnt(6)
	v_lshrrev_b32_e32 v98, 16, v9
	v_mul_f16_sdwa v113, v22, v93 dst_sel:DWORD dst_unused:UNUSED_PAD src0_sel:WORD_1 src1_sel:DWORD
	v_fmac_f16_e32 v112, v20, v2
	v_fma_f16 v92, v21, v92, -v1
	v_mul_f16_sdwa v1, v21, v4 dst_sel:DWORD dst_unused:UNUSED_PAD src0_sel:WORD_1 src1_sel:DWORD
	v_mul_f16_sdwa v2, v20, v2 dst_sel:DWORD dst_unused:UNUSED_PAD src0_sel:WORD_1 src1_sel:DWORD
	;; [unrolled: 1-line block ×4, first 2 shown]
	v_lshrrev_b32_e32 v96, 16, v6
	v_fma_f16 v95, v21, v95, -v1
	v_mul_f16_sdwa v1, v20, v7 dst_sel:DWORD dst_unused:UNUSED_PAD src0_sel:WORD_1 src1_sel:DWORD
	s_waitcnt lgkmcnt(5)
	v_lshrrev_b32_e32 v99, 16, v11
	v_lshrrev_b32_e32 v101, 16, v10
	v_fmac_f16_e32 v113, v22, v5
	v_fma_f16 v5, v22, v93, -v114
	v_fma_f16 v93, v20, v94, -v2
	v_mul_f16_sdwa v2, v22, v6 dst_sel:DWORD dst_unused:UNUSED_PAD src0_sel:WORD_1 src1_sel:DWORD
	v_mul_f16_sdwa v114, v20, v97 dst_sel:DWORD dst_unused:UNUSED_PAD src0_sel:WORD_1 src1_sel:DWORD
	v_fma_f16 v97, v20, v97, -v1
	v_mul_f16_sdwa v117, v21, v98 dst_sel:DWORD dst_unused:UNUSED_PAD src0_sel:WORD_1 src1_sel:DWORD
	v_mul_f16_sdwa v1, v21, v9 dst_sel:DWORD dst_unused:UNUSED_PAD src0_sel:WORD_1 src1_sel:DWORD
	v_lshrrev_b32_e32 v100, 16, v8
	v_lshrrev_b32_e32 v102, 16, v12
	s_waitcnt lgkmcnt(4)
	v_lshrrev_b32_e32 v103, 16, v17
	v_fmac_f16_e32 v110, v21, v3
	v_mul_f16_sdwa v94, v22, v96 dst_sel:DWORD dst_unused:UNUSED_PAD src0_sel:WORD_1 src1_sel:DWORD
	v_fma_f16 v96, v22, v96, -v2
	v_mul_f16_sdwa v119, v22, v99 dst_sel:DWORD dst_unused:UNUSED_PAD src0_sel:WORD_1 src1_sel:DWORD
	v_mul_f16_sdwa v2, v20, v8 dst_sel:DWORD dst_unused:UNUSED_PAD src0_sel:WORD_1 src1_sel:DWORD
	;; [unrolled: 1-line block ×3, first 2 shown]
	v_fmac_f16_e32 v117, v21, v9
	v_fma_f16 v9, v21, v98, -v1
	v_mul_f16_sdwa v98, v21, v101 dst_sel:DWORD dst_unused:UNUSED_PAD src0_sel:WORD_1 src1_sel:DWORD
	v_mul_f16_sdwa v1, v21, v10 dst_sel:DWORD dst_unused:UNUSED_PAD src0_sel:WORD_1 src1_sel:DWORD
	s_waitcnt lgkmcnt(3)
	v_lshrrev_b32_e32 v104, 16, v84
	v_lshrrev_b32_e32 v106, 16, v18
	v_mul_f16_sdwa v116, v20, v100 dst_sel:DWORD dst_unused:UNUSED_PAD src0_sel:WORD_1 src1_sel:DWORD
	v_fmac_f16_e32 v119, v22, v11
	v_fma_f16 v11, v22, v99, -v3
	v_fma_f16 v99, v20, v100, -v2
	v_fmac_f16_e32 v98, v21, v10
	v_mul_f16_sdwa v10, v22, v102 dst_sel:DWORD dst_unused:UNUSED_PAD src0_sel:WORD_1 src1_sel:DWORD
	v_mul_f16_sdwa v2, v22, v12 dst_sel:DWORD dst_unused:UNUSED_PAD src0_sel:WORD_1 src1_sel:DWORD
	;; [unrolled: 1-line block ×3, first 2 shown]
	v_fma_f16 v101, v21, v101, -v1
	v_mul_f16_sdwa v1, v20, v17 dst_sel:DWORD dst_unused:UNUSED_PAD src0_sel:WORD_1 src1_sel:DWORD
	v_mul_f16_sdwa v3, v20, v18 dst_sel:DWORD dst_unused:UNUSED_PAD src0_sel:WORD_1 src1_sel:DWORD
	s_waitcnt lgkmcnt(2)
	v_lshrrev_b32_e32 v105, 16, v86
	v_lshrrev_b32_e32 v107, 16, v85
	v_fmac_f16_e32 v10, v22, v12
	v_fma_f16 v12, v22, v102, -v2
	v_fmac_f16_e32 v100, v20, v17
	v_mul_f16_sdwa v17, v20, v106 dst_sel:DWORD dst_unused:UNUSED_PAD src0_sel:WORD_1 src1_sel:DWORD
	v_fma_f16 v102, v20, v103, -v1
	v_mul_f16_sdwa v103, v21, v104 dst_sel:DWORD dst_unused:UNUSED_PAD src0_sel:WORD_1 src1_sel:DWORD
	v_mul_f16_sdwa v1, v21, v84 dst_sel:DWORD dst_unused:UNUSED_PAD src0_sel:WORD_1 src1_sel:DWORD
	;; [unrolled: 1-line block ×3, first 2 shown]
	v_fma_f16 v106, v20, v106, -v3
	v_mul_f16_sdwa v3, v21, v85 dst_sel:DWORD dst_unused:UNUSED_PAD src0_sel:WORD_1 src1_sel:DWORD
	v_fmac_f16_e32 v115, v21, v4
	v_fmac_f16_e32 v17, v20, v18
	;; [unrolled: 1-line block ×3, first 2 shown]
	v_fma_f16 v18, v21, v104, -v1
	v_mul_f16_sdwa v84, v21, v107 dst_sel:DWORD dst_unused:UNUSED_PAD src0_sel:WORD_1 src1_sel:DWORD
	v_fma_f16 v104, v22, v105, -v2
	ds_read2st64_b32 v[1:2], v52 offset0:240 offset1:248
	v_fma_f16 v107, v21, v107, -v3
	ds_read2st64_b32 v[3:4], v52 offset1:8
	s_waitcnt lgkmcnt(3)
	v_lshrrev_b32_e32 v111, 16, v88
	v_mul_f16_sdwa v105, v22, v105 dst_sel:DWORD dst_unused:UNUSED_PAD src0_sel:WORD_1 src1_sel:DWORD
	v_lshrrev_b32_e32 v109, 16, v87
	v_mul_f16_sdwa v120, v20, v88 dst_sel:DWORD dst_unused:UNUSED_PAD src0_sel:WORD_1 src1_sel:DWORD
	v_fmac_f16_e32 v114, v20, v7
	v_fmac_f16_e32 v116, v20, v8
	;; [unrolled: 1-line block ×3, first 2 shown]
	v_mul_f16_sdwa v86, v20, v111 dst_sel:DWORD dst_unused:UNUSED_PAD src0_sel:WORD_1 src1_sel:DWORD
	v_fmac_f16_e32 v84, v21, v85
	v_mul_f16_sdwa v85, v22, v109 dst_sel:DWORD dst_unused:UNUSED_PAD src0_sel:WORD_1 src1_sel:DWORD
	v_lshrrev_b32_e32 v7, 16, v89
	v_mul_f16_sdwa v8, v22, v87 dst_sel:DWORD dst_unused:UNUSED_PAD src0_sel:WORD_1 src1_sel:DWORD
	v_fmac_f16_e32 v86, v20, v88
	v_fma_f16 v88, v20, v111, -v120
	v_fmac_f16_e32 v85, v22, v87
	v_sub_f16_e32 v113, v108, v113
	v_fma_f16 v87, v22, v109, -v8
	s_waitcnt lgkmcnt(1)
	v_lshrrev_b32_e32 v120, 16, v1
	v_lshrrev_b32_e32 v122, 16, v2
	s_waitcnt lgkmcnt(0)
	v_lshrrev_b32_e32 v132, 16, v3
	v_mul_f16_sdwa v109, v20, v7 dst_sel:DWORD dst_unused:UNUSED_PAD src0_sel:WORD_1 src1_sel:DWORD
	v_sub_f16_e32 v110, v3, v110
	v_mul_f16_sdwa v130, v22, v120 dst_sel:DWORD dst_unused:UNUSED_PAD src0_sel:WORD_1 src1_sel:DWORD
	v_mul_f16_sdwa v131, v22, v122 dst_sel:DWORD dst_unused:UNUSED_PAD src0_sel:WORD_1 src1_sel:DWORD
	v_sub_f16_e32 v92, v132, v92
	v_sub_f16_e32 v5, v19, v5
	v_fmac_f16_e32 v94, v22, v6
	v_lshrrev_b32_e32 v6, 16, v90
	v_lshrrev_b32_e32 v8, 16, v91
	v_fmac_f16_e32 v109, v20, v89
	v_mul_f16_sdwa v89, v20, v89 dst_sel:DWORD dst_unused:UNUSED_PAD src0_sel:WORD_1 src1_sel:DWORD
	v_fmac_f16_e32 v130, v22, v1
	v_fmac_f16_e32 v131, v22, v2
	v_mul_f16_sdwa v1, v22, v1 dst_sel:DWORD dst_unused:UNUSED_PAD src0_sel:WORD_1 src1_sel:DWORD
	v_mul_f16_sdwa v133, v22, v2 dst_sel:DWORD dst_unused:UNUSED_PAD src0_sel:WORD_1 src1_sel:DWORD
	v_fma_f16 v132, v132, 2.0, -v92
	v_fma_f16 v2, v108, 2.0, -v113
	;; [unrolled: 1-line block ×4, first 2 shown]
	v_mul_f16_sdwa v111, v21, v6 dst_sel:DWORD dst_unused:UNUSED_PAD src0_sel:WORD_1 src1_sel:DWORD
	v_mul_f16_sdwa v129, v21, v8 dst_sel:DWORD dst_unused:UNUSED_PAD src0_sel:WORD_1 src1_sel:DWORD
	v_fma_f16 v108, v22, v120, -v1
	v_fma_f16 v20, v20, v7, -v89
	v_sub_f16_e32 v89, v3, v2
	v_sub_f16_e32 v19, v132, v19
	v_add_f16_e32 v120, v110, v5
	v_sub_f16_e32 v113, v92, v113
	v_fmac_f16_e32 v111, v21, v90
	v_fmac_f16_e32 v129, v21, v91
	v_mul_f16_sdwa v90, v21, v90 dst_sel:DWORD dst_unused:UNUSED_PAD src0_sel:WORD_1 src1_sel:DWORD
	v_mul_f16_sdwa v91, v21, v91 dst_sel:DWORD dst_unused:UNUSED_PAD src0_sel:WORD_1 src1_sel:DWORD
	ds_read2st64_b32 v[1:2], v52 offset0:16 offset1:24
	v_fma_f16 v3, v3, 2.0, -v89
	v_fma_f16 v7, v132, 2.0, -v19
	;; [unrolled: 1-line block ×4, first 2 shown]
	v_pack_b32_f16 v19, v89, v19
	v_pack_b32_f16 v89, v120, v113
	v_fma_f16 v90, v21, v6, -v90
	v_fma_f16 v21, v21, v8, -v91
	ds_read2st64_b32 v[5:6], v52 offset0:32 offset1:40
	v_pack_b32_f16 v3, v3, v7
	v_pack_b32_f16 v91, v110, v92
	ds_read2st64_b32 v[7:8], v52 offset0:48 offset1:56
	s_waitcnt lgkmcnt(0)
	s_barrier
	buffer_gl0_inv
	ds_write2st64_b32 v118, v19, v89 offset0:4 offset1:6
	v_lshrrev_b32_e32 v19, 16, v4
	ds_write2st64_b32 v118, v3, v91 offset1:2
	v_sub_f16_e32 v3, v4, v115
	v_sub_f16_e32 v94, v112, v94
	;; [unrolled: 1-line block ×4, first 2 shown]
	v_lshrrev_b32_e32 v92, 16, v1
	v_fma_f16 v4, v4, 2.0, -v3
	v_fma_f16 v112, v112, 2.0, -v94
	;; [unrolled: 1-line block ×4, first 2 shown]
	v_sub_f16_e32 v89, v1, v117
	v_sub_f16_e32 v91, v2, v98
	;; [unrolled: 1-line block ×3, first 2 shown]
	v_lshrrev_b32_e32 v98, 16, v2
	v_sub_f16_e32 v93, v19, v93
	v_sub_f16_e32 v9, v92, v9
	v_sub_f16_e32 v119, v114, v119
	v_fma_f16 v4, v4, 2.0, -v112
	v_sub_f16_e32 v11, v97, v11
	v_fma_f16 v19, v19, 2.0, -v93
	v_add_f16_e32 v96, v3, v96
	v_sub_f16_e32 v94, v95, v94
	v_fma_f16 v1, v1, 2.0, -v89
	v_fma_f16 v92, v92, 2.0, -v9
	;; [unrolled: 1-line block ×6, first 2 shown]
	v_pack_b32_f16 v4, v4, v19
	v_pack_b32_f16 v19, v112, v93
	v_sub_f16_e32 v93, v98, v101
	v_sub_f16_e32 v12, v99, v12
	;; [unrolled: 1-line block ×4, first 2 shown]
	v_pack_b32_f16 v3, v3, v95
	v_add_f16_e32 v11, v89, v11
	v_sub_f16_e32 v95, v9, v119
	v_fma_f16 v98, v98, 2.0, -v93
	v_fma_f16 v99, v99, 2.0, -v12
	v_lshrrev_b32_e32 v110, 16, v5
	v_fma_f16 v1, v1, 2.0, -v114
	v_fma_f16 v92, v92, 2.0, -v97
	v_sub_f16_e32 v10, v116, v10
	v_fma_f16 v89, v89, 2.0, -v11
	v_fma_f16 v9, v9, 2.0, -v95
	v_sub_f16_e32 v99, v98, v99
	v_lshrrev_b32_e32 v113, 16, v6
	v_lshrrev_b32_e32 v117, 16, v7
	v_fma_f16 v2, v2, 2.0, -v91
	v_sub_f16_e32 v103, v5, v103
	v_fma_f16 v101, v116, 2.0, -v10
	v_pack_b32_f16 v1, v1, v92
	v_pack_b32_f16 v9, v89, v9
	v_sub_f16_e32 v89, v100, v105
	v_fma_f16 v92, v98, 2.0, -v99
	v_sub_f16_e32 v18, v110, v18
	v_sub_f16_e32 v98, v102, v104
	v_fma_f16 v22, v22, v122, -v133
	v_lshrrev_b32_e32 v118, 16, v8
	v_sub_f16_e32 v84, v6, v84
	v_sub_f16_e32 v85, v17, v85
	v_sub_f16_e32 v104, v113, v107
	v_sub_f16_e32 v87, v106, v87
	v_sub_f16_e32 v111, v7, v111
	v_sub_f16_e32 v90, v117, v90
	v_sub_f16_e32 v107, v86, v130
	v_sub_f16_e32 v108, v88, v108
	v_fma_f16 v5, v5, 2.0, -v103
	v_pack_b32_f16 v94, v96, v94
	v_sub_f16_e32 v96, v2, v101
	v_fma_f16 v100, v100, 2.0, -v89
	v_fma_f16 v101, v110, 2.0, -v18
	;; [unrolled: 1-line block ×3, first 2 shown]
	v_sub_f16_e32 v115, v8, v129
	v_sub_f16_e32 v112, v109, v131
	;; [unrolled: 1-line block ×4, first 2 shown]
	v_fma_f16 v6, v6, 2.0, -v84
	v_fma_f16 v17, v17, 2.0, -v85
	;; [unrolled: 1-line block ×4, first 2 shown]
	v_add_f16_e32 v12, v91, v12
	v_sub_f16_e32 v10, v93, v10
	v_fma_f16 v7, v7, 2.0, -v111
	v_fma_f16 v110, v117, 2.0, -v90
	;; [unrolled: 1-line block ×4, first 2 shown]
	v_sub_f16_e32 v100, v5, v100
	v_sub_f16_e32 v102, v101, v102
	v_add_f16_e32 v98, v103, v98
	v_sub_f16_e32 v89, v18, v89
	v_fma_f16 v8, v8, 2.0, -v115
	v_fma_f16 v109, v109, 2.0, -v112
	;; [unrolled: 1-line block ×4, first 2 shown]
	v_sub_f16_e32 v17, v6, v17
	v_sub_f16_e32 v106, v105, v106
	v_add_f16_e32 v87, v84, v87
	v_sub_f16_e32 v85, v104, v85
	v_fma_f16 v2, v2, 2.0, -v96
	v_fma_f16 v91, v91, 2.0, -v12
	;; [unrolled: 1-line block ×3, first 2 shown]
	v_sub_f16_e32 v86, v7, v86
	v_sub_f16_e32 v88, v110, v88
	v_add_f16_e32 v108, v111, v108
	v_sub_f16_e32 v107, v90, v107
	v_fma_f16 v5, v5, 2.0, -v100
	v_fma_f16 v101, v101, 2.0, -v102
	;; [unrolled: 1-line block ×4, first 2 shown]
	v_sub_f16_e32 v109, v8, v109
	v_sub_f16_e32 v20, v113, v20
	v_add_f16_e32 v22, v115, v22
	v_sub_f16_e32 v112, v21, v112
	v_pack_b32_f16 v97, v114, v97
	v_pack_b32_f16 v11, v11, v95
	v_fma_f16 v6, v6, 2.0, -v17
	v_fma_f16 v105, v105, 2.0, -v106
	;; [unrolled: 1-line block ×4, first 2 shown]
	ds_write2st64_b32 v121, v4, v3 offset1:2
	ds_write2st64_b32 v121, v19, v94 offset0:4 offset1:6
	ds_write2st64_b32 v123, v1, v9 offset1:2
	ds_write2st64_b32 v123, v97, v11 offset0:4 offset1:6
	v_pack_b32_f16 v1, v2, v92
	v_pack_b32_f16 v2, v91, v93
	v_fma_f16 v7, v7, 2.0, -v86
	v_fma_f16 v110, v110, 2.0, -v88
	;; [unrolled: 1-line block ×4, first 2 shown]
	v_pack_b32_f16 v3, v96, v99
	v_pack_b32_f16 v4, v12, v10
	;; [unrolled: 1-line block ×4, first 2 shown]
	v_fma_f16 v8, v8, 2.0, -v109
	v_fma_f16 v113, v113, 2.0, -v20
	v_fma_f16 v115, v115, 2.0, -v22
	v_fma_f16 v21, v21, 2.0, -v112
	v_pack_b32_f16 v10, v100, v102
	v_pack_b32_f16 v11, v98, v89
	;; [unrolled: 1-line block ×4, first 2 shown]
	ds_write2st64_b32 v124, v1, v2 offset1:2
	ds_write2st64_b32 v124, v3, v4 offset0:4 offset1:6
	ds_write2st64_b32 v127, v5, v9 offset1:2
	ds_write2st64_b32 v127, v10, v11 offset0:4 offset1:6
	ds_write2st64_b32 v125, v6, v12 offset1:2
	v_pack_b32_f16 v1, v17, v106
	v_pack_b32_f16 v2, v87, v85
	v_pack_b32_f16 v3, v7, v110
	v_pack_b32_f16 v4, v111, v90
	v_pack_b32_f16 v5, v86, v88
	v_pack_b32_f16 v6, v108, v107
	v_pack_b32_f16 v7, v8, v113
	v_pack_b32_f16 v8, v115, v21
	v_pack_b32_f16 v9, v109, v20
	v_pack_b32_f16 v10, v22, v112
	ds_write2st64_b32 v125, v1, v2 offset0:4 offset1:6
	ds_write2st64_b32 v126, v3, v4 offset1:2
	ds_write2st64_b32 v126, v5, v6 offset0:4 offset1:6
	ds_write2st64_b32 v128, v7, v8 offset1:2
	ds_write2st64_b32 v128, v9, v10 offset0:4 offset1:6
	s_waitcnt lgkmcnt(0)
	s_barrier
	buffer_gl0_inv
	ds_read2st64_b32 v[1:2], v52 offset0:32 offset1:40
	ds_read2st64_b32 v[3:4], v52 offset0:64 offset1:72
	;; [unrolled: 1-line block ×11, first 2 shown]
	ds_read2st64_b32 v[88:89], v52 offset1:8
	ds_read2st64_b32 v[90:91], v52 offset0:176 offset1:184
	ds_read2st64_b32 v[92:93], v52 offset0:208 offset1:216
	;; [unrolled: 1-line block ×3, first 2 shown]
	s_waitcnt lgkmcnt(14)
	v_lshrrev_b32_e32 v96, 16, v1
	v_mul_f16_sdwa v117, v13, v1 dst_sel:DWORD dst_unused:UNUSED_PAD src0_sel:WORD_1 src1_sel:DWORD
	s_waitcnt lgkmcnt(13)
	v_lshrrev_b32_e32 v97, 16, v3
	s_waitcnt lgkmcnt(12)
	v_lshrrev_b32_e32 v98, 16, v5
	v_lshrrev_b32_e32 v103, 16, v2
	v_mul_f16_sdwa v115, v13, v96 dst_sel:DWORD dst_unused:UNUSED_PAD src0_sel:WORD_1 src1_sel:DWORD
	v_fma_f16 v96, v13, v96, -v117
	v_mul_f16_sdwa v117, v15, v5 dst_sel:DWORD dst_unused:UNUSED_PAD src0_sel:WORD_1 src1_sel:DWORD
	s_waitcnt lgkmcnt(11)
	v_lshrrev_b32_e32 v99, 16, v7
	v_lshrrev_b32_e32 v104, 16, v4
	v_fmac_f16_e32 v115, v13, v1
	v_mul_f16_sdwa v1, v14, v3 dst_sel:DWORD dst_unused:UNUSED_PAD src0_sel:WORD_1 src1_sel:DWORD
	v_lshrrev_b32_e32 v105, 16, v6
	v_mul_f16_sdwa v120, v14, v97 dst_sel:DWORD dst_unused:UNUSED_PAD src0_sel:WORD_1 src1_sel:DWORD
	v_mul_f16_sdwa v121, v13, v103 dst_sel:DWORD dst_unused:UNUSED_PAD src0_sel:WORD_1 src1_sel:DWORD
	v_lshrrev_b32_e32 v106, 16, v8
	v_fma_f16 v1, v14, v97, -v1
	v_mul_f16_sdwa v97, v15, v98 dst_sel:DWORD dst_unused:UNUSED_PAD src0_sel:WORD_1 src1_sel:DWORD
	v_fma_f16 v98, v15, v98, -v117
	v_mul_f16_sdwa v117, v16, v7 dst_sel:DWORD dst_unused:UNUSED_PAD src0_sel:WORD_1 src1_sel:DWORD
	v_fmac_f16_e32 v121, v13, v2
	v_mul_f16_sdwa v2, v13, v2 dst_sel:DWORD dst_unused:UNUSED_PAD src0_sel:WORD_1 src1_sel:DWORD
	v_mul_f16_sdwa v122, v14, v104 dst_sel:DWORD dst_unused:UNUSED_PAD src0_sel:WORD_1 src1_sel:DWORD
	v_fmac_f16_e32 v120, v14, v3
	v_fma_f16 v3, v16, v99, -v117
	v_mul_f16_sdwa v99, v16, v99 dst_sel:DWORD dst_unused:UNUSED_PAD src0_sel:WORD_1 src1_sel:DWORD
	v_fmac_f16_e32 v97, v15, v5
	v_mul_f16_sdwa v5, v15, v105 dst_sel:DWORD dst_unused:UNUSED_PAD src0_sel:WORD_1 src1_sel:DWORD
	s_waitcnt lgkmcnt(7)
	v_lshrrev_b32_e32 v110, 16, v19
	v_lshrrev_b32_e32 v114, 16, v20
	v_fmac_f16_e32 v122, v14, v4
	v_mul_f16_sdwa v4, v14, v4 dst_sel:DWORD dst_unused:UNUSED_PAD src0_sel:WORD_1 src1_sel:DWORD
	v_fmac_f16_e32 v99, v16, v7
	v_fma_f16 v7, v13, v103, -v2
	v_mul_f16_sdwa v2, v15, v6 dst_sel:DWORD dst_unused:UNUSED_PAD src0_sel:WORD_1 src1_sel:DWORD
	v_fmac_f16_e32 v5, v15, v6
	v_mul_f16_sdwa v6, v16, v106 dst_sel:DWORD dst_unused:UNUSED_PAD src0_sel:WORD_1 src1_sel:DWORD
	v_mul_f16_sdwa v103, v16, v8 dst_sel:DWORD dst_unused:UNUSED_PAD src0_sel:WORD_1 src1_sel:DWORD
	s_waitcnt lgkmcnt(6)
	v_lshrrev_b32_e32 v111, 16, v21
	s_waitcnt lgkmcnt(5)
	v_lshrrev_b32_e32 v112, 16, v84
	v_fma_f16 v4, v14, v104, -v4
	v_fma_f16 v104, v15, v105, -v2
	v_mul_f16_sdwa v105, v13, v110 dst_sel:DWORD dst_unused:UNUSED_PAD src0_sel:WORD_1 src1_sel:DWORD
	v_mul_f16_sdwa v2, v13, v19 dst_sel:DWORD dst_unused:UNUSED_PAD src0_sel:WORD_1 src1_sel:DWORD
	v_fmac_f16_e32 v6, v16, v8
	v_fma_f16 v8, v16, v106, -v103
	v_mul_f16_sdwa v103, v14, v21 dst_sel:DWORD dst_unused:UNUSED_PAD src0_sel:WORD_1 src1_sel:DWORD
	v_mul_f16_sdwa v106, v13, v114 dst_sel:DWORD dst_unused:UNUSED_PAD src0_sel:WORD_1 src1_sel:DWORD
	s_waitcnt lgkmcnt(4)
	v_lshrrev_b32_e32 v113, 16, v86
	v_lshrrev_b32_e32 v116, 16, v22
	;; [unrolled: 1-line block ×3, first 2 shown]
	v_fmac_f16_e32 v105, v13, v19
	v_fma_f16 v19, v13, v110, -v2
	v_mul_f16_sdwa v110, v14, v111 dst_sel:DWORD dst_unused:UNUSED_PAD src0_sel:WORD_1 src1_sel:DWORD
	v_fma_f16 v103, v14, v111, -v103
	v_mul_f16_sdwa v111, v15, v112 dst_sel:DWORD dst_unused:UNUSED_PAD src0_sel:WORD_1 src1_sel:DWORD
	v_mul_f16_sdwa v2, v15, v84 dst_sel:DWORD dst_unused:UNUSED_PAD src0_sel:WORD_1 src1_sel:DWORD
	v_fmac_f16_e32 v106, v13, v20
	v_mul_f16_sdwa v20, v13, v20 dst_sel:DWORD dst_unused:UNUSED_PAD src0_sel:WORD_1 src1_sel:DWORD
	v_mul_f16_sdwa v117, v16, v86 dst_sel:DWORD dst_unused:UNUSED_PAD src0_sel:WORD_1 src1_sel:DWORD
	v_lshrrev_b32_e32 v119, 16, v87
	v_fmac_f16_e32 v110, v14, v21
	v_fmac_f16_e32 v111, v15, v84
	v_fma_f16 v21, v15, v112, -v2
	v_mul_f16_sdwa v84, v14, v116 dst_sel:DWORD dst_unused:UNUSED_PAD src0_sel:WORD_1 src1_sel:DWORD
	v_fma_f16 v112, v16, v113, -v117
	v_fma_f16 v13, v13, v114, -v20
	v_mul_f16_sdwa v20, v15, v118 dst_sel:DWORD dst_unused:UNUSED_PAD src0_sel:WORD_1 src1_sel:DWORD
	v_mul_f16_sdwa v113, v16, v113 dst_sel:DWORD dst_unused:UNUSED_PAD src0_sel:WORD_1 src1_sel:DWORD
	v_lshrrev_b32_e32 v100, 16, v9
	v_fmac_f16_e32 v84, v14, v22
	v_mul_f16_sdwa v2, v14, v22 dst_sel:DWORD dst_unused:UNUSED_PAD src0_sel:WORD_1 src1_sel:DWORD
	v_mul_f16_sdwa v22, v16, v119 dst_sel:DWORD dst_unused:UNUSED_PAD src0_sel:WORD_1 src1_sel:DWORD
	v_fmac_f16_e32 v20, v15, v85
	v_mul_f16_sdwa v85, v15, v85 dst_sel:DWORD dst_unused:UNUSED_PAD src0_sel:WORD_1 src1_sel:DWORD
	v_fmac_f16_e32 v113, v16, v86
	v_mul_f16_sdwa v86, v16, v87 dst_sel:DWORD dst_unused:UNUSED_PAD src0_sel:WORD_1 src1_sel:DWORD
	v_lshrrev_b32_e32 v101, 16, v11
	v_lshrrev_b32_e32 v107, 16, v10
	;; [unrolled: 1-line block ×3, first 2 shown]
	v_fmac_f16_e32 v22, v16, v87
	v_fma_f16 v15, v15, v118, -v85
	v_mul_f16_sdwa v85, v23, v100 dst_sel:DWORD dst_unused:UNUSED_PAD src0_sel:WORD_1 src1_sel:DWORD
	v_fma_f16 v16, v16, v119, -v86
	v_mul_f16_sdwa v86, v23, v9 dst_sel:DWORD dst_unused:UNUSED_PAD src0_sel:WORD_1 src1_sel:DWORD
	v_lshrrev_b32_e32 v102, 16, v17
	v_mul_f16_sdwa v117, v24, v101 dst_sel:DWORD dst_unused:UNUSED_PAD src0_sel:WORD_1 src1_sel:DWORD
	v_mul_f16_sdwa v118, v24, v11 dst_sel:DWORD dst_unused:UNUSED_PAD src0_sel:WORD_1 src1_sel:DWORD
	v_fmac_f16_e32 v85, v23, v9
	v_fma_f16 v9, v23, v100, -v86
	v_mul_f16_sdwa v86, v23, v107 dst_sel:DWORD dst_unused:UNUSED_PAD src0_sel:WORD_1 src1_sel:DWORD
	v_mul_f16_sdwa v100, v24, v108 dst_sel:DWORD dst_unused:UNUSED_PAD src0_sel:WORD_1 src1_sel:DWORD
	v_lshrrev_b32_e32 v109, 16, v18
	s_waitcnt lgkmcnt(2)
	v_lshrrev_b32_e32 v114, 16, v90
	v_fmac_f16_e32 v117, v24, v11
	v_fma_f16 v11, v24, v101, -v118
	v_mul_f16_sdwa v101, v25, v102 dst_sel:DWORD dst_unused:UNUSED_PAD src0_sel:WORD_1 src1_sel:DWORD
	v_fmac_f16_e32 v86, v23, v10
	v_mul_f16_sdwa v10, v23, v10 dst_sel:DWORD dst_unused:UNUSED_PAD src0_sel:WORD_1 src1_sel:DWORD
	v_mul_f16_sdwa v118, v25, v17 dst_sel:DWORD dst_unused:UNUSED_PAD src0_sel:WORD_1 src1_sel:DWORD
	v_fmac_f16_e32 v100, v24, v12
	v_mul_f16_sdwa v12, v24, v12 dst_sel:DWORD dst_unused:UNUSED_PAD src0_sel:WORD_1 src1_sel:DWORD
	v_fma_f16 v14, v14, v116, -v2
	v_lshrrev_b32_e32 v116, 16, v91
	v_fmac_f16_e32 v101, v25, v17
	v_fma_f16 v17, v25, v102, -v118
	v_mul_f16_sdwa v102, v25, v109 dst_sel:DWORD dst_unused:UNUSED_PAD src0_sel:WORD_1 src1_sel:DWORD
	v_fma_f16 v10, v23, v107, -v10
	v_mul_f16_sdwa v107, v25, v18 dst_sel:DWORD dst_unused:UNUSED_PAD src0_sel:WORD_1 src1_sel:DWORD
	;; [unrolled: 2-line block ×3, first 2 shown]
	s_waitcnt lgkmcnt(1)
	v_lshrrev_b32_e32 v87, 16, v92
	v_fmac_f16_e32 v102, v25, v18
	v_mul_f16_sdwa v18, v23, v90 dst_sel:DWORD dst_unused:UNUSED_PAD src0_sel:WORD_1 src1_sel:DWORD
	v_fma_f16 v107, v25, v109, -v107
	v_mul_f16_sdwa v109, v24, v92 dst_sel:DWORD dst_unused:UNUSED_PAD src0_sel:WORD_1 src1_sel:DWORD
	v_fmac_f16_e32 v108, v23, v90
	v_mul_f16_sdwa v90, v23, v116 dst_sel:DWORD dst_unused:UNUSED_PAD src0_sel:WORD_1 src1_sel:DWORD
	s_waitcnt lgkmcnt(0)
	v_lshrrev_b32_e32 v2, 16, v94
	v_lshrrev_b32_e32 v119, 16, v93
	v_fma_f16 v18, v23, v114, -v18
	v_mul_f16_sdwa v114, v23, v91 dst_sel:DWORD dst_unused:UNUSED_PAD src0_sel:WORD_1 src1_sel:DWORD
	v_fma_f16 v109, v24, v87, -v109
	v_mul_f16_sdwa v87, v24, v87 dst_sel:DWORD dst_unused:UNUSED_PAD src0_sel:WORD_1 src1_sel:DWORD
	v_fmac_f16_e32 v90, v23, v91
	v_mul_f16_sdwa v91, v25, v94 dst_sel:DWORD dst_unused:UNUSED_PAD src0_sel:WORD_1 src1_sel:DWORD
	v_fma_f16 v23, v23, v116, -v114
	v_mul_f16_sdwa v114, v24, v119 dst_sel:DWORD dst_unused:UNUSED_PAD src0_sel:WORD_1 src1_sel:DWORD
	v_lshrrev_b32_e32 v116, 16, v95
	v_fmac_f16_e32 v87, v24, v92
	v_fma_f16 v91, v25, v2, -v91
	v_mul_f16_sdwa v92, v25, v2 dst_sel:DWORD dst_unused:UNUSED_PAD src0_sel:WORD_1 src1_sel:DWORD
	v_lshrrev_b32_e32 v2, 16, v88
	v_fmac_f16_e32 v114, v24, v93
	v_mul_f16_sdwa v118, v25, v116 dst_sel:DWORD dst_unused:UNUSED_PAD src0_sel:WORD_1 src1_sel:DWORD
	v_mul_f16_sdwa v93, v24, v93 dst_sel:DWORD dst_unused:UNUSED_PAD src0_sel:WORD_1 src1_sel:DWORD
	;; [unrolled: 1-line block ×3, first 2 shown]
	v_sub_f16_e32 v3, v2, v3
	v_fmac_f16_e32 v92, v25, v94
	v_fmac_f16_e32 v118, v25, v95
	v_fma_f16 v24, v24, v119, -v93
	v_sub_f16_e32 v93, v88, v99
	v_fma_f16 v94, v2, 2.0, -v3
	v_sub_f16_e32 v2, v120, v117
	v_sub_f16_e32 v11, v1, v11
	;; [unrolled: 1-line block ×6, first 2 shown]
	v_fma_f16 v25, v25, v116, -v123
	v_add_f16_e32 v101, v93, v11
	v_sub_f16_e32 v116, v3, v2
	v_add_f16_e32 v117, v85, v17
	v_sub_f16_e32 v119, v9, v95
	v_fma_f16 v99, v120, 2.0, -v2
	v_fma_f16 v11, v1, 2.0, -v11
	;; [unrolled: 1-line block ×9, first 2 shown]
	v_fmamk_f16 v96, v1, 0xb9a8, v120
	v_fmamk_f16 v97, v2, 0xb9a8, v3
	v_lshrrev_b32_e32 v115, 16, v89
	v_fma_f16 v17, v98, 2.0, -v17
	v_fmamk_f16 v98, v117, 0x39a8, v101
	v_fmac_f16_e32 v96, 0x39a8, v2
	v_fmac_f16_e32 v97, 0xb9a8, v1
	ds_read2st64_b32 v[1:2], v52 offset0:16 offset1:24
	v_fma_f16 v88, v88, 2.0, -v93
	v_sub_f16_e32 v8, v115, v8
	v_sub_f16_e32 v93, v122, v100
	;; [unrolled: 1-line block ×4, first 2 shown]
	v_fmac_f16_e32 v98, 0x39a8, v119
	v_fmamk_f16 v119, v119, 0x39a8, v116
	v_sub_f16_e32 v6, v89, v6
	v_sub_f16_e32 v12, v4, v12
	v_fma_f16 v100, v115, 2.0, -v8
	v_sub_f16_e32 v86, v121, v86
	v_sub_f16_e32 v107, v104, v107
	v_fma_f16 v115, v122, 2.0, -v93
	v_sub_f16_e32 v93, v8, v93
	v_sub_f16_e32 v123, v10, v102
	v_fmac_f16_e32 v119, 0xb9a8, v117
	v_add_f16_e32 v117, v6, v12
	v_add_f16_e32 v122, v86, v107
	v_fma_f16 v8, v8, 2.0, -v93
	v_fma_f16 v124, v10, 2.0, -v123
	;; [unrolled: 1-line block ×7, first 2 shown]
	v_fmamk_f16 v102, v124, 0xb9a8, v8
	v_fma_f16 v7, v7, 2.0, -v10
	v_fma_f16 v86, v121, 2.0, -v86
	v_fmamk_f16 v10, v12, 0xb9a8, v6
	v_fmamk_f16 v121, v122, 0x39a8, v117
	v_fmac_f16_e32 v102, 0xb9a8, v12
	s_waitcnt lgkmcnt(0)
	v_lshrrev_b32_e32 v12, 16, v1
	v_sub_f16_e32 v87, v110, v87
	v_sub_f16_e32 v92, v111, v92
	;; [unrolled: 1-line block ×3, first 2 shown]
	v_fma_f16 v104, v104, 2.0, -v107
	v_sub_f16_e32 v112, v12, v112
	v_fmamk_f16 v107, v123, 0x39a8, v93
	v_fmac_f16_e32 v121, 0x39a8, v123
	v_sub_f16_e32 v109, v103, v109
	v_sub_f16_e32 v113, v1, v113
	v_fma_f16 v110, v110, 2.0, -v87
	v_sub_f16_e32 v108, v105, v108
	v_sub_f16_e32 v91, v21, v91
	;; [unrolled: 1-line block ×4, first 2 shown]
	v_fmac_f16_e32 v107, 0xb9a8, v122
	v_fma_f16 v103, v103, 2.0, -v109
	v_add_f16_e32 v109, v113, v109
	v_add_f16_e32 v122, v108, v91
	v_fma_f16 v125, v112, 2.0, -v87
	v_fma_f16 v126, v18, 2.0, -v123
	v_fmac_f16_e32 v10, 0x39a8, v124
	v_fma_f16 v105, v105, 2.0, -v108
	v_fma_f16 v124, v113, 2.0, -v109
	;; [unrolled: 1-line block ×4, first 2 shown]
	v_fmamk_f16 v111, v126, 0xb9a8, v125
	v_fma_f16 v18, v19, 2.0, -v18
	v_sub_f16_e32 v19, v2, v22
	v_lshrrev_b32_e32 v22, 16, v2
	v_sub_f16_e32 v24, v14, v24
	v_sub_f16_e32 v90, v106, v90
	;; [unrolled: 1-line block ×3, first 2 shown]
	v_fma_f16 v21, v21, 2.0, -v91
	v_fmamk_f16 v91, v108, 0xb9a8, v124
	v_fmac_f16_e32 v111, 0xb9a8, v108
	v_sub_f16_e32 v108, v84, v114
	v_fma_f16 v1, v1, 2.0, -v113
	v_sub_f16_e32 v16, v22, v16
	v_sub_f16_e32 v23, v13, v23
	;; [unrolled: 1-line block ×7, first 2 shown]
	v_fma_f16 v14, v14, 2.0, -v24
	v_add_f16_e32 v24, v19, v24
	v_fma_f16 v15, v15, 2.0, -v25
	v_add_f16_e32 v25, v90, v25
	v_fmamk_f16 v127, v123, 0x39a8, v87
	v_fma_f16 v84, v84, 2.0, -v108
	v_fma_f16 v20, v20, 2.0, -v113
	v_sub_f16_e32 v108, v16, v108
	v_sub_f16_e32 v113, v23, v113
	v_fma_f16 v88, v88, 2.0, -v99
	v_fma_f16 v94, v94, 2.0, -v11
	;; [unrolled: 1-line block ×9, first 2 shown]
	v_fmamk_f16 v112, v122, 0x39a8, v109
	v_fmac_f16_e32 v127, 0xb9a8, v122
	v_fmamk_f16 v122, v113, 0x39a8, v108
	v_sub_f16_e32 v85, v88, v85
	v_sub_f16_e32 v9, v94, v9
	v_fma_f16 v22, v22, 2.0, -v16
	v_fma_f16 v13, v13, 2.0, -v23
	v_fma_f16 v16, v16, 2.0, -v108
	v_fma_f16 v23, v23, 2.0, -v113
	v_fmamk_f16 v114, v90, 0xb9a8, v19
	v_fmamk_f16 v118, v25, 0x39a8, v24
	v_fmac_f16_e32 v122, 0xb9a8, v25
	v_fma_f16 v25, v88, 2.0, -v85
	v_fma_f16 v88, v94, 2.0, -v9
	v_sub_f16_e32 v94, v89, v115
	v_sub_f16_e32 v4, v100, v4
	;; [unrolled: 1-line block ×4, first 2 shown]
	v_fmac_f16_e32 v114, 0x39a8, v23
	v_fmamk_f16 v23, v23, 0xb9a8, v16
	v_sub_f16_e32 v110, v1, v110
	v_sub_f16_e32 v103, v12, v103
	;; [unrolled: 1-line block ×4, first 2 shown]
	v_fma_f16 v89, v89, 2.0, -v94
	v_fma_f16 v100, v100, 2.0, -v4
	;; [unrolled: 1-line block ×4, first 2 shown]
	v_fmac_f16_e32 v23, 0xb9a8, v90
	v_fma_f16 v90, v120, 2.0, -v96
	v_add_f16_e32 v17, v99, v17
	v_sub_f16_e32 v95, v11, v95
	v_fma_f16 v3, v3, 2.0, -v97
	v_sub_f16_e32 v84, v2, v84
	v_sub_f16_e32 v20, v106, v20
	;; [unrolled: 1-line block ×4, first 2 shown]
	v_fma_f16 v1, v1, 2.0, -v110
	v_fma_f16 v12, v12, 2.0, -v103
	;; [unrolled: 1-line block ×4, first 2 shown]
	v_sub_f16_e32 v86, v89, v86
	v_sub_f16_e32 v7, v100, v7
	v_add_f16_e32 v104, v94, v104
	v_sub_f16_e32 v5, v4, v5
	v_fmac_f16_e32 v118, 0x39a8, v113
	v_fma_f16 v99, v99, 2.0, -v17
	v_fma_f16 v11, v11, 2.0, -v95
	;; [unrolled: 1-line block ×4, first 2 shown]
	v_pack_b32_f16 v25, v25, v88
	v_pack_b32_f16 v3, v90, v3
	v_fma_f16 v2, v2, 2.0, -v84
	v_fma_f16 v106, v106, 2.0, -v20
	v_fma_f16 v22, v22, 2.0, -v14
	v_fma_f16 v13, v13, 2.0, -v15
	v_fmac_f16_e32 v91, 0x39a8, v126
	v_sub_f16_e32 v105, v1, v105
	v_sub_f16_e32 v18, v12, v18
	v_fmac_f16_e32 v112, 0x39a8, v123
	v_fma_f16 v89, v89, 2.0, -v86
	v_fma_f16 v100, v100, 2.0, -v7
	v_fma_f16 v6, v6, 2.0, -v10
	v_fma_f16 v8, v8, 2.0, -v102
	v_add_f16_e32 v21, v110, v21
	v_sub_f16_e32 v92, v103, v92
	v_fma_f16 v94, v94, 2.0, -v104
	v_fma_f16 v4, v4, 2.0, -v5
	;; [unrolled: 1-line block ×4, first 2 shown]
	s_barrier
	buffer_gl0_inv
	ds_write2st64_b32 v52, v25, v3 offset1:8
	v_pack_b32_f16 v3, v99, v11
	v_pack_b32_f16 v11, v101, v113
	v_sub_f16_e32 v106, v2, v106
	v_sub_f16_e32 v13, v22, v13
	v_pack_b32_f16 v9, v85, v9
	v_pack_b32_f16 v25, v96, v97
	v_fma_f16 v1, v1, 2.0, -v105
	v_fma_f16 v12, v12, 2.0, -v18
	;; [unrolled: 1-line block ×4, first 2 shown]
	v_add_f16_e32 v15, v84, v15
	v_sub_f16_e32 v20, v14, v20
	v_pack_b32_f16 v17, v17, v95
	v_pack_b32_f16 v85, v98, v119
	v_fma_f16 v110, v110, 2.0, -v21
	v_fma_f16 v103, v103, 2.0, -v92
	;; [unrolled: 1-line block ×4, first 2 shown]
	v_pack_b32_f16 v89, v89, v100
	v_pack_b32_f16 v6, v6, v8
	;; [unrolled: 1-line block ×4, first 2 shown]
	ds_write2st64_b32 v52, v3, v11 offset0:16 offset1:24
	ds_write2st64_b32 v52, v9, v25 offset0:32 offset1:40
	;; [unrolled: 1-line block ×5, first 2 shown]
	v_pack_b32_f16 v3, v86, v7
	v_pack_b32_f16 v4, v10, v102
	v_fma_f16 v2, v2, 2.0, -v106
	v_fma_f16 v22, v22, 2.0, -v13
	;; [unrolled: 1-line block ×4, first 2 shown]
	v_pack_b32_f16 v5, v104, v5
	v_pack_b32_f16 v6, v121, v107
	v_fma_f16 v84, v84, 2.0, -v15
	v_fma_f16 v14, v14, 2.0, -v20
	;; [unrolled: 1-line block ×4, first 2 shown]
	v_pack_b32_f16 v1, v1, v12
	v_pack_b32_f16 v7, v116, v117
	;; [unrolled: 1-line block ×6, first 2 shown]
	ds_write2st64_b32 v52, v3, v4 offset0:96 offset1:104
	ds_write2st64_b32 v52, v5, v6 offset0:112 offset1:120
	;; [unrolled: 1-line block ×5, first 2 shown]
	v_pack_b32_f16 v1, v21, v92
	v_pack_b32_f16 v3, v112, v127
	;; [unrolled: 1-line block ×10, first 2 shown]
	ds_write2st64_b32 v52, v1, v3 offset0:176 offset1:184
	ds_write2st64_b32 v52, v2, v4 offset0:192 offset1:200
	;; [unrolled: 1-line block ×5, first 2 shown]
	s_waitcnt lgkmcnt(0)
	s_barrier
	buffer_gl0_inv
	ds_read2st64_b32 v[1:2], v52 offset1:8
	ds_read2st64_b32 v[3:4], v52 offset0:64 offset1:72
	ds_read2st64_b32 v[5:6], v52 offset0:128 offset1:136
	;; [unrolled: 1-line block ×15, first 2 shown]
	s_waitcnt lgkmcnt(15)
	v_lshrrev_b32_e32 v25, 16, v1
	s_waitcnt lgkmcnt(14)
	v_lshrrev_b32_e32 v92, 16, v3
	;; [unrolled: 2-line block ×4, first 2 shown]
	v_mul_f16_sdwa v120, v30, v5 dst_sel:DWORD dst_unused:UNUSED_PAD src0_sel:WORD_1 src1_sel:DWORD
	v_lshrrev_b32_e32 v96, 16, v4
	v_lshrrev_b32_e32 v97, 16, v6
	v_mul_f16_sdwa v117, v29, v3 dst_sel:DWORD dst_unused:UNUSED_PAD src0_sel:WORD_1 src1_sel:DWORD
	v_mul_f16_sdwa v121, v29, v92 dst_sel:DWORD dst_unused:UNUSED_PAD src0_sel:WORD_1 src1_sel:DWORD
	;; [unrolled: 1-line block ×3, first 2 shown]
	v_fma_f16 v93, v30, v93, -v120
	v_mul_f16_sdwa v120, v31, v94 dst_sel:DWORD dst_unused:UNUSED_PAD src0_sel:WORD_1 src1_sel:DWORD
	v_lshrrev_b32_e32 v98, 16, v8
	v_fma_f16 v92, v29, v92, -v117
	v_mul_f16_sdwa v117, v31, v7 dst_sel:DWORD dst_unused:UNUSED_PAD src0_sel:WORD_1 src1_sel:DWORD
	v_fmac_f16_e32 v121, v29, v3
	v_mul_f16_sdwa v29, v26, v96 dst_sel:DWORD dst_unused:UNUSED_PAD src0_sel:WORD_1 src1_sel:DWORD
	v_fmac_f16_e32 v120, v31, v7
	v_mul_f16_sdwa v7, v27, v97 dst_sel:DWORD dst_unused:UNUSED_PAD src0_sel:WORD_1 src1_sel:DWORD
	s_waitcnt lgkmcnt(10)
	v_lshrrev_b32_e32 v100, 16, v11
	v_fmac_f16_e32 v122, v30, v5
	v_fmac_f16_e32 v29, v26, v4
	v_mul_f16_sdwa v4, v26, v4 dst_sel:DWORD dst_unused:UNUSED_PAD src0_sel:WORD_1 src1_sel:DWORD
	v_mul_f16_sdwa v30, v28, v98 dst_sel:DWORD dst_unused:UNUSED_PAD src0_sel:WORD_1 src1_sel:DWORD
	v_fmac_f16_e32 v7, v27, v6
	v_mul_f16_sdwa v6, v27, v6 dst_sel:DWORD dst_unused:UNUSED_PAD src0_sel:WORD_1 src1_sel:DWORD
	s_waitcnt lgkmcnt(9)
	v_lshrrev_b32_e32 v101, 16, v13
	s_waitcnt lgkmcnt(8)
	v_lshrrev_b32_e32 v102, 16, v15
	v_lshrrev_b32_e32 v104, 16, v12
	;; [unrolled: 1-line block ×3, first 2 shown]
	v_fmac_f16_e32 v30, v28, v8
	v_mul_f16_sdwa v8, v28, v8 dst_sel:DWORD dst_unused:UNUSED_PAD src0_sel:WORD_1 src1_sel:DWORD
	v_fma_f16 v4, v26, v96, -v4
	v_mul_f16_sdwa v26, v35, v100 dst_sel:DWORD dst_unused:UNUSED_PAD src0_sel:WORD_1 src1_sel:DWORD
	v_fma_f16 v6, v27, v97, -v6
	v_mul_f16_sdwa v27, v35, v11 dst_sel:DWORD dst_unused:UNUSED_PAD src0_sel:WORD_1 src1_sel:DWORD
	v_lshrrev_b32_e32 v106, 16, v16
	s_waitcnt lgkmcnt(6)
	v_lshrrev_b32_e32 v108, 16, v19
	v_fma_f16 v8, v28, v98, -v8
	v_mul_f16_sdwa v28, v36, v13 dst_sel:DWORD dst_unused:UNUSED_PAD src0_sel:WORD_1 src1_sel:DWORD
	v_fmac_f16_e32 v26, v35, v11
	v_fma_f16 v27, v35, v100, -v27
	v_mul_f16_sdwa v35, v36, v101 dst_sel:DWORD dst_unused:UNUSED_PAD src0_sel:WORD_1 src1_sel:DWORD
	v_mul_f16_sdwa v96, v37, v102 dst_sel:DWORD dst_unused:UNUSED_PAD src0_sel:WORD_1 src1_sel:DWORD
	v_mul_f16_sdwa v97, v32, v104 dst_sel:DWORD dst_unused:UNUSED_PAD src0_sel:WORD_1 src1_sel:DWORD
	v_mul_f16_sdwa v98, v32, v12 dst_sel:DWORD dst_unused:UNUSED_PAD src0_sel:WORD_1 src1_sel:DWORD
	v_mul_f16_sdwa v100, v33, v105 dst_sel:DWORD dst_unused:UNUSED_PAD src0_sel:WORD_1 src1_sel:DWORD
	s_waitcnt lgkmcnt(5)
	v_lshrrev_b32_e32 v109, 16, v21
	s_waitcnt lgkmcnt(4)
	v_lshrrev_b32_e32 v110, 16, v23
	v_lshrrev_b32_e32 v112, 16, v20
	v_mul_f16_sdwa v11, v37, v15 dst_sel:DWORD dst_unused:UNUSED_PAD src0_sel:WORD_1 src1_sel:DWORD
	v_fma_f16 v28, v36, v101, -v28
	v_fmac_f16_e32 v35, v36, v13
	v_fmac_f16_e32 v96, v37, v15
	;; [unrolled: 1-line block ×3, first 2 shown]
	v_fma_f16 v12, v32, v104, -v98
	v_fmac_f16_e32 v100, v33, v14
	v_mul_f16_sdwa v13, v33, v14 dst_sel:DWORD dst_unused:UNUSED_PAD src0_sel:WORD_1 src1_sel:DWORD
	v_mul_f16_sdwa v14, v34, v106 dst_sel:DWORD dst_unused:UNUSED_PAD src0_sel:WORD_1 src1_sel:DWORD
	;; [unrolled: 1-line block ×5, first 2 shown]
	v_lshrrev_b32_e32 v113, 16, v22
	v_lshrrev_b32_e32 v114, 16, v24
	v_fma_f16 v11, v37, v102, -v11
	v_fma_f16 v13, v33, v105, -v13
	v_fmac_f16_e32 v14, v34, v16
	v_fma_f16 v15, v34, v106, -v15
	v_fmac_f16_e32 v32, v41, v19
	v_fma_f16 v16, v41, v108, -v36
	v_mul_f16_sdwa v19, v42, v109 dst_sel:DWORD dst_unused:UNUSED_PAD src0_sel:WORD_1 src1_sel:DWORD
	v_mul_f16_sdwa v33, v42, v21 dst_sel:DWORD dst_unused:UNUSED_PAD src0_sel:WORD_1 src1_sel:DWORD
	;; [unrolled: 1-line block ×5, first 2 shown]
	s_waitcnt lgkmcnt(2)
	v_lshrrev_b32_e32 v116, 16, v86
	s_waitcnt lgkmcnt(1)
	v_lshrrev_b32_e32 v118, 16, v88
	v_fmac_f16_e32 v19, v42, v21
	v_fma_f16 v21, v42, v109, -v33
	v_fmac_f16_e32 v34, v43, v23
	v_fma_f16 v23, v43, v110, -v36
	v_fmac_f16_e32 v37, v38, v20
	v_mul_f16_sdwa v20, v38, v20 dst_sel:DWORD dst_unused:UNUSED_PAD src0_sel:WORD_1 src1_sel:DWORD
	v_mul_f16_sdwa v33, v39, v113 dst_sel:DWORD dst_unused:UNUSED_PAD src0_sel:WORD_1 src1_sel:DWORD
	;; [unrolled: 1-line block ×5, first 2 shown]
	s_waitcnt lgkmcnt(0)
	v_lshrrev_b32_e32 v119, 16, v90
	v_fma_f16 v3, v31, v94, -v117
	v_lshrrev_b32_e32 v31, 16, v87
	v_lshrrev_b32_e32 v94, 16, v89
	v_fma_f16 v20, v38, v112, -v20
	v_fmac_f16_e32 v33, v39, v22
	v_fma_f16 v22, v39, v113, -v36
	v_fmac_f16_e32 v41, v40, v24
	v_fma_f16 v24, v40, v114, -v42
	v_mul_f16_sdwa v36, v47, v116 dst_sel:DWORD dst_unused:UNUSED_PAD src0_sel:WORD_1 src1_sel:DWORD
	v_mul_f16_sdwa v38, v47, v86 dst_sel:DWORD dst_unused:UNUSED_PAD src0_sel:WORD_1 src1_sel:DWORD
	;; [unrolled: 1-line block ×4, first 2 shown]
	v_lshrrev_b32_e32 v95, 16, v2
	v_lshrrev_b32_e32 v117, 16, v91
	v_mul_f16_sdwa v42, v49, v119 dst_sel:DWORD dst_unused:UNUSED_PAD src0_sel:WORD_1 src1_sel:DWORD
	v_fmac_f16_e32 v36, v47, v86
	v_fma_f16 v38, v47, v116, -v38
	v_fmac_f16_e32 v39, v48, v88
	v_fma_f16 v40, v48, v118, -v40
	v_mul_f16_sdwa v43, v49, v90 dst_sel:DWORD dst_unused:UNUSED_PAD src0_sel:WORD_1 src1_sel:DWORD
	v_mul_f16_sdwa v47, v44, v31 dst_sel:DWORD dst_unused:UNUSED_PAD src0_sel:WORD_1 src1_sel:DWORD
	;; [unrolled: 1-line block ×5, first 2 shown]
	v_lshrrev_b32_e32 v99, 16, v9
	v_lshrrev_b32_e32 v103, 16, v10
	v_fmac_f16_e32 v42, v49, v90
	v_fma_f16 v43, v49, v119, -v43
	v_fmac_f16_e32 v47, v44, v87
	v_fma_f16 v31, v44, v31, -v48
	;; [unrolled: 2-line block ×3, first 2 shown]
	v_sub_f16_e32 v45, v1, v122
	v_mul_f16_sdwa v48, v46, v117 dst_sel:DWORD dst_unused:UNUSED_PAD src0_sel:WORD_1 src1_sel:DWORD
	v_sub_f16_e32 v49, v121, v120
	v_mul_f16_sdwa v87, v46, v91 dst_sel:DWORD dst_unused:UNUSED_PAD src0_sel:WORD_1 src1_sel:DWORD
	v_sub_f16_e32 v88, v25, v93
	v_sub_f16_e32 v3, v92, v3
	;; [unrolled: 1-line block ×6, first 2 shown]
	v_fma_f16 v1, v1, 2.0, -v45
	v_fma_f16 v89, v121, 2.0, -v49
	v_fmac_f16_e32 v48, v46, v91
	v_fma_f16 v46, v46, v117, -v87
	v_fma_f16 v25, v25, 2.0, -v88
	v_fma_f16 v87, v92, 2.0, -v3
	v_fma_f16 v2, v2, 2.0, -v7
	v_fma_f16 v90, v95, 2.0, -v6
	v_fma_f16 v29, v29, 2.0, -v30
	v_fma_f16 v4, v4, 2.0, -v8
	v_sub_f16_e32 v35, v9, v35
	v_sub_f16_e32 v91, v26, v96
	v_sub_f16_e32 v28, v99, v28
	v_sub_f16_e32 v11, v27, v11
	v_sub_f16_e32 v93, v10, v100
	v_sub_f16_e32 v13, v103, v13
	v_sub_f16_e32 v14, v97, v14
	v_sub_f16_e32 v15, v12, v15
	v_lshrrev_b32_e32 v107, 16, v17
	v_lshrrev_b32_e32 v111, 16, v18
	v_sub_f16_e32 v89, v1, v89
	v_sub_f16_e32 v87, v25, v87
	v_sub_f16_e32 v29, v2, v29
	v_sub_f16_e32 v4, v90, v4
	v_fma_f16 v9, v9, 2.0, -v35
	v_fma_f16 v26, v26, 2.0, -v91
	;; [unrolled: 1-line block ×8, first 2 shown]
	v_lshrrev_b32_e32 v115, 16, v84
	v_lshrrev_b32_e32 v5, 16, v85
	v_add_f16_e32 v3, v45, v3
	v_sub_f16_e32 v49, v88, v49
	v_add_f16_e32 v8, v7, v8
	v_sub_f16_e32 v30, v6, v30
	v_sub_f16_e32 v19, v17, v19
	v_sub_f16_e32 v34, v32, v34
	v_sub_f16_e32 v21, v107, v21
	v_sub_f16_e32 v23, v16, v23
	v_sub_f16_e32 v33, v18, v33
	v_sub_f16_e32 v41, v37, v41
	v_sub_f16_e32 v22, v111, v22
	v_sub_f16_e32 v24, v20, v24
	v_fma_f16 v1, v1, 2.0, -v89
	v_fma_f16 v25, v25, 2.0, -v87
	;; [unrolled: 1-line block ×4, first 2 shown]
	v_sub_f16_e32 v26, v9, v26
	v_sub_f16_e32 v27, v92, v27
	;; [unrolled: 1-line block ×4, first 2 shown]
	v_fma_f16 v45, v45, 2.0, -v3
	v_fma_f16 v88, v88, 2.0, -v49
	;; [unrolled: 1-line block ×4, first 2 shown]
	v_add_f16_e32 v11, v35, v11
	v_sub_f16_e32 v91, v28, v91
	v_add_f16_e32 v15, v93, v15
	v_fma_f16 v17, v17, 2.0, -v19
	v_fma_f16 v32, v32, 2.0, -v34
	v_sub_f16_e32 v14, v13, v14
	v_fma_f16 v96, v107, 2.0, -v21
	v_fma_f16 v16, v16, 2.0, -v23
	;; [unrolled: 1-line block ×6, first 2 shown]
	v_sub_f16_e32 v39, v84, v39
	v_sub_f16_e32 v40, v115, v40
	v_sub_f16_e32 v42, v36, v42
	v_sub_f16_e32 v43, v38, v43
	v_sub_f16_e32 v86, v85, v86
	v_sub_f16_e32 v44, v5, v44
	v_sub_f16_e32 v48, v47, v48
	v_sub_f16_e32 v46, v31, v46
	v_fma_f16 v9, v9, 2.0, -v26
	v_fma_f16 v92, v92, 2.0, -v27
	;; [unrolled: 1-line block ×4, first 2 shown]
	v_pack_b32_f16 v1, v1, v25
	v_pack_b32_f16 v2, v2, v90
	v_fma_f16 v35, v35, 2.0, -v11
	v_fma_f16 v28, v28, 2.0, -v91
	v_fma_f16 v93, v93, 2.0, -v15
	v_sub_f16_e32 v32, v17, v32
	v_fma_f16 v13, v13, 2.0, -v14
	v_sub_f16_e32 v16, v96, v16
	v_sub_f16_e32 v37, v18, v37
	;; [unrolled: 1-line block ×3, first 2 shown]
	v_fma_f16 v84, v84, 2.0, -v39
	v_fma_f16 v98, v115, 2.0, -v40
	;; [unrolled: 1-line block ×8, first 2 shown]
	v_pack_b32_f16 v25, v45, v88
	v_pack_b32_f16 v6, v7, v6
	v_add_f16_e32 v23, v19, v23
	v_sub_f16_e32 v34, v21, v34
	v_add_f16_e32 v24, v33, v24
	v_sub_f16_e32 v41, v22, v41
	v_pack_b32_f16 v45, v89, v87
	v_pack_b32_f16 v4, v29, v4
	;; [unrolled: 1-line block ×3, first 2 shown]
	ds_write2st64_b32 v52, v1, v2 offset1:8
	ds_write2st64_b32 v52, v25, v6 offset0:64 offset1:72
	ds_write2st64_b32 v52, v45, v4 offset0:128 offset1:136
	v_pack_b32_f16 v1, v8, v30
	v_pack_b32_f16 v2, v9, v92
	;; [unrolled: 1-line block ×3, first 2 shown]
	v_fma_f16 v17, v17, 2.0, -v32
	v_fma_f16 v96, v96, 2.0, -v16
	;; [unrolled: 1-line block ×4, first 2 shown]
	v_sub_f16_e32 v36, v84, v36
	v_sub_f16_e32 v38, v98, v38
	;; [unrolled: 1-line block ×4, first 2 shown]
	v_pack_b32_f16 v4, v35, v28
	v_pack_b32_f16 v9, v93, v13
	v_fma_f16 v19, v19, 2.0, -v23
	v_fma_f16 v21, v21, 2.0, -v34
	;; [unrolled: 1-line block ×4, first 2 shown]
	v_add_f16_e32 v43, v39, v43
	v_sub_f16_e32 v42, v40, v42
	v_add_f16_e32 v46, v86, v46
	v_sub_f16_e32 v48, v44, v48
	v_pack_b32_f16 v6, v26, v27
	v_pack_b32_f16 v10, v95, v12
	ds_write2st64_b32 v52, v3, v1 offset0:192 offset1:200
	v_pack_b32_f16 v1, v11, v91
	ds_write2st64_b32 v52, v2, v8 offset0:16 offset1:24
	ds_write2st64_b32 v52, v4, v9 offset0:80 offset1:88
	;; [unrolled: 1-line block ×3, first 2 shown]
	v_pack_b32_f16 v2, v15, v14
	v_fma_f16 v84, v84, 2.0, -v36
	v_fma_f16 v98, v98, 2.0, -v38
	;; [unrolled: 1-line block ×4, first 2 shown]
	v_pack_b32_f16 v3, v17, v96
	v_pack_b32_f16 v8, v18, v97
	v_fma_f16 v39, v39, 2.0, -v43
	v_fma_f16 v40, v40, 2.0, -v42
	v_fma_f16 v86, v86, 2.0, -v46
	v_fma_f16 v7, v44, 2.0, -v48
	v_pack_b32_f16 v4, v19, v21
	v_pack_b32_f16 v9, v33, v22
	;; [unrolled: 1-line block ×4, first 2 shown]
	ds_write2st64_b32 v52, v1, v2 offset0:208 offset1:216
	v_pack_b32_f16 v1, v23, v34
	v_pack_b32_f16 v2, v24, v41
	ds_write2st64_b32 v52, v3, v8 offset0:32 offset1:40
	ds_write2st64_b32 v52, v4, v9 offset0:96 offset1:104
	;; [unrolled: 1-line block ×3, first 2 shown]
	v_pack_b32_f16 v3, v84, v98
	v_pack_b32_f16 v5, v85, v5
	;; [unrolled: 1-line block ×8, first 2 shown]
	ds_write2st64_b32 v52, v1, v2 offset0:224 offset1:232
	ds_write2st64_b32 v52, v3, v5 offset0:48 offset1:56
	;; [unrolled: 1-line block ×5, first 2 shown]
	s_waitcnt lgkmcnt(0)
	s_barrier
	buffer_gl0_inv
	ds_read2st64_b32 v[1:2], v52 offset1:8
	ds_read2st64_b32 v[7:8], v52 offset0:32 offset1:40
	v_mad_u64_u32 v[3:4], null, s2, v50, 0
	v_mad_u64_u32 v[5:6], null, s0, v0, 0
	ds_read2st64_b32 v[17:18], v52 offset0:192 offset1:200
	v_mad_u64_u32 v[9:10], null, s3, v50, v[4:5]
	s_lshl_b64 s[2:3], s[0:1], 13
	s_waitcnt lgkmcnt(2)
	v_lshrrev_b32_e32 v11, 16, v1
	v_mul_f16_sdwa v12, v83, v1 dst_sel:DWORD dst_unused:UNUSED_PAD src0_sel:WORD_1 src1_sel:DWORD
	v_mov_b32_e32 v4, v9
	v_mul_f16_sdwa v13, v83, v11 dst_sel:DWORD dst_unused:UNUSED_PAD src0_sel:WORD_1 src1_sel:DWORD
	v_lshlrev_b64 v[3:4], 2, v[3:4]
	v_fmac_f16_e32 v13, v83, v1
	v_fma_f16 v1, v83, v11, -v12
	s_waitcnt lgkmcnt(1)
	v_mad_u64_u32 v[10:11], null, s1, v0, v[6:7]
	ds_read2st64_b32 v[11:12], v52 offset0:64 offset1:72
	v_mov_b32_e32 v0, 0x400
	v_mul_f16_e32 v9, 0x400, v13
	v_lshrrev_b32_e32 v13, 16, v7
	v_add_co_u32 v3, vcc_lo, s4, v3
	v_mul_f16_sdwa v1, v1, v0 dst_sel:WORD_1 dst_unused:UNUSED_PAD src0_sel:DWORD src1_sel:DWORD
	v_mov_b32_e32 v6, v10
	v_mul_f16_sdwa v14, v82, v13 dst_sel:DWORD dst_unused:UNUSED_PAD src0_sel:WORD_1 src1_sel:DWORD
	v_add_co_ci_u32_e32 v4, vcc_lo, s5, v4, vcc_lo
	v_or_b32_sdwa v1, v1, v9 dst_sel:DWORD dst_unused:UNUSED_PAD src0_sel:DWORD src1_sel:WORD_0
	ds_read2st64_b32 v[9:10], v52 offset0:96 offset1:104
	v_lshlrev_b64 v[5:6], 2, v[5:6]
	v_fmac_f16_e32 v14, v82, v7
	v_mul_f16_sdwa v7, v82, v7 dst_sel:DWORD dst_unused:UNUSED_PAD src0_sel:WORD_1 src1_sel:DWORD
	s_mul_hi_u32 s4, s0, 0xffff2800
	s_mul_i32 s1, s1, 0xffff2800
	s_sub_i32 s4, s4, s0
	v_add_co_u32 v3, vcc_lo, v3, v5
	s_waitcnt lgkmcnt(1)
	v_lshrrev_b32_e32 v15, 16, v11
	v_add_co_ci_u32_e32 v4, vcc_lo, v4, v6, vcc_lo
	v_fma_f16 v7, v82, v13, -v7
	v_mul_f16_e32 v13, 0x400, v14
	v_mul_f16_sdwa v14, v81, v15 dst_sel:DWORD dst_unused:UNUSED_PAD src0_sel:WORD_1 src1_sel:DWORD
	ds_read2st64_b32 v[5:6], v52 offset0:128 offset1:136
	v_mul_f16_sdwa v16, v81, v11 dst_sel:DWORD dst_unused:UNUSED_PAD src0_sel:WORD_1 src1_sel:DWORD
	v_mul_f16_sdwa v7, v7, v0 dst_sel:WORD_1 dst_unused:UNUSED_PAD src0_sel:DWORD src1_sel:DWORD
	global_store_dword v[3:4], v1, off
	v_fmac_f16_e32 v14, v81, v11
	s_waitcnt lgkmcnt(1)
	v_lshrrev_b32_e32 v11, 16, v9
	v_fma_f16 v1, v81, v15, -v16
	v_or_b32_sdwa v7, v7, v13 dst_sel:DWORD dst_unused:UNUSED_PAD src0_sel:DWORD src1_sel:WORD_0
	v_add_co_u32 v3, vcc_lo, v3, s2
	v_mul_f16_e32 v15, 0x400, v14
	ds_read2st64_b32 v[13:14], v52 offset0:160 offset1:168
	v_mul_f16_sdwa v1, v1, v0 dst_sel:WORD_1 dst_unused:UNUSED_PAD src0_sel:DWORD src1_sel:DWORD
	v_mul_f16_sdwa v19, v80, v11 dst_sel:DWORD dst_unused:UNUSED_PAD src0_sel:WORD_1 src1_sel:DWORD
	v_mul_f16_sdwa v16, v80, v9 dst_sel:DWORD dst_unused:UNUSED_PAD src0_sel:WORD_1 src1_sel:DWORD
	v_add_co_ci_u32_e32 v4, vcc_lo, s3, v4, vcc_lo
	v_or_b32_sdwa v1, v1, v15 dst_sel:DWORD dst_unused:UNUSED_PAD src0_sel:DWORD src1_sel:WORD_0
	v_add_co_u32 v15, vcc_lo, v3, s2
	v_fmac_f16_e32 v19, v80, v9
	v_fma_f16 v9, v80, v11, -v16
	v_add_co_ci_u32_e32 v16, vcc_lo, s3, v4, vcc_lo
	s_waitcnt lgkmcnt(1)
	v_lshrrev_b32_e32 v11, 16, v5
	global_store_dword v[3:4], v7, off
	global_store_dword v[15:16], v1, off
	v_add_co_u32 v3, vcc_lo, v15, s2
	v_mul_f16_sdwa v20, v78, v11 dst_sel:DWORD dst_unused:UNUSED_PAD src0_sel:WORD_1 src1_sel:DWORD
	v_mul_f16_sdwa v21, v78, v5 dst_sel:DWORD dst_unused:UNUSED_PAD src0_sel:WORD_1 src1_sel:DWORD
	v_add_co_ci_u32_e32 v4, vcc_lo, s3, v16, vcc_lo
	ds_read2st64_b32 v[15:16], v52 offset0:224 offset1:232
	v_mul_f16_e32 v19, 0x400, v19
	v_mul_f16_sdwa v9, v9, v0 dst_sel:WORD_1 dst_unused:UNUSED_PAD src0_sel:DWORD src1_sel:DWORD
	v_fmac_f16_e32 v20, v78, v5
	v_fma_f16 v5, v78, v11, -v21
	s_waitcnt lgkmcnt(1)
	v_lshrrev_b32_e32 v7, 16, v13
	s_mul_i32 s0, s0, 0xffff2800
	v_or_b32_sdwa v1, v9, v19 dst_sel:DWORD dst_unused:UNUSED_PAD src0_sel:DWORD src1_sel:WORD_0
	v_mul_f16_e32 v9, 0x400, v20
	v_mul_f16_sdwa v5, v5, v0 dst_sel:WORD_1 dst_unused:UNUSED_PAD src0_sel:DWORD src1_sel:DWORD
	v_mul_f16_sdwa v11, v76, v7 dst_sel:DWORD dst_unused:UNUSED_PAD src0_sel:WORD_1 src1_sel:DWORD
	v_mul_f16_sdwa v19, v76, v13 dst_sel:DWORD dst_unused:UNUSED_PAD src0_sel:WORD_1 src1_sel:DWORD
	v_lshrrev_b32_e32 v20, 16, v17
	global_store_dword v[3:4], v1, off
	v_or_b32_sdwa v1, v5, v9 dst_sel:DWORD dst_unused:UNUSED_PAD src0_sel:DWORD src1_sel:WORD_0
	v_fmac_f16_e32 v11, v76, v13
	v_fma_f16 v5, v76, v7, -v19
	v_mul_f16_sdwa v7, v75, v20 dst_sel:DWORD dst_unused:UNUSED_PAD src0_sel:WORD_1 src1_sel:DWORD
	v_mul_f16_sdwa v9, v75, v17 dst_sel:DWORD dst_unused:UNUSED_PAD src0_sel:WORD_1 src1_sel:DWORD
	v_add_co_u32 v3, vcc_lo, v3, s2
	v_add_co_ci_u32_e32 v4, vcc_lo, s3, v4, vcc_lo
	v_mul_f16_e32 v11, 0x400, v11
	v_mul_f16_sdwa v5, v5, v0 dst_sel:WORD_1 dst_unused:UNUSED_PAD src0_sel:DWORD src1_sel:DWORD
	v_fmac_f16_e32 v7, v75, v17
	v_fma_f16 v9, v75, v20, -v9
	s_waitcnt lgkmcnt(0)
	v_lshrrev_b32_e32 v13, 16, v15
	global_store_dword v[3:4], v1, off
	v_or_b32_sdwa v1, v5, v11 dst_sel:DWORD dst_unused:UNUSED_PAD src0_sel:DWORD src1_sel:WORD_0
	v_mul_f16_e32 v5, 0x400, v7
	v_mul_f16_sdwa v7, v9, v0 dst_sel:WORD_1 dst_unused:UNUSED_PAD src0_sel:DWORD src1_sel:DWORD
	v_mul_f16_sdwa v9, v79, v13 dst_sel:DWORD dst_unused:UNUSED_PAD src0_sel:WORD_1 src1_sel:DWORD
	v_mul_f16_sdwa v11, v79, v15 dst_sel:DWORD dst_unused:UNUSED_PAD src0_sel:WORD_1 src1_sel:DWORD
	v_add_co_u32 v3, vcc_lo, v3, s2
	v_or_b32_sdwa v5, v7, v5 dst_sel:DWORD dst_unused:UNUSED_PAD src0_sel:DWORD src1_sel:WORD_0
	v_fmac_f16_e32 v9, v79, v15
	v_fma_f16 v7, v79, v13, -v11
	v_add_co_ci_u32_e32 v4, vcc_lo, s3, v4, vcc_lo
	v_lshrrev_b32_e32 v11, 16, v2
	v_add_co_u32 v19, vcc_lo, v3, s2
	v_mul_f16_e32 v9, 0x400, v9
	v_mul_f16_sdwa v7, v7, v0 dst_sel:WORD_1 dst_unused:UNUSED_PAD src0_sel:DWORD src1_sel:DWORD
	v_add_co_ci_u32_e32 v20, vcc_lo, s3, v4, vcc_lo
	v_mul_f16_sdwa v13, v77, v11 dst_sel:DWORD dst_unused:UNUSED_PAD src0_sel:WORD_1 src1_sel:DWORD
	v_mul_f16_sdwa v15, v77, v2 dst_sel:DWORD dst_unused:UNUSED_PAD src0_sel:WORD_1 src1_sel:DWORD
	global_store_dword v[3:4], v1, off
	global_store_dword v[19:20], v5, off
	v_or_b32_sdwa v5, v7, v9 dst_sel:DWORD dst_unused:UNUSED_PAD src0_sel:DWORD src1_sel:WORD_0
	v_lshrrev_b32_e32 v7, 16, v8
	v_fmac_f16_e32 v13, v77, v2
	v_fma_f16 v3, v77, v11, -v15
	v_mul_f16_sdwa v11, v74, v8 dst_sel:DWORD dst_unused:UNUSED_PAD src0_sel:WORD_1 src1_sel:DWORD
	v_add_co_u32 v1, vcc_lo, v19, s2
	v_mul_f16_sdwa v9, v74, v7 dst_sel:DWORD dst_unused:UNUSED_PAD src0_sel:WORD_1 src1_sel:DWORD
	v_mul_f16_e32 v4, 0x400, v13
	v_mul_f16_sdwa v3, v3, v0 dst_sel:WORD_1 dst_unused:UNUSED_PAD src0_sel:DWORD src1_sel:DWORD
	v_fma_f16 v7, v74, v7, -v11
	v_add_co_ci_u32_e32 v2, vcc_lo, s3, v20, vcc_lo
	v_fmac_f16_e32 v9, v74, v8
	v_lshrrev_b32_e32 v8, 16, v12
	v_or_b32_sdwa v13, v3, v4 dst_sel:DWORD dst_unused:UNUSED_PAD src0_sel:DWORD src1_sel:WORD_0
	s_add_i32 s1, s4, s1
	v_add_co_u32 v3, vcc_lo, v1, s0
	v_mul_f16_e32 v9, 0x400, v9
	v_mul_f16_sdwa v7, v7, v0 dst_sel:WORD_1 dst_unused:UNUSED_PAD src0_sel:DWORD src1_sel:DWORD
	v_mul_f16_sdwa v11, v73, v8 dst_sel:DWORD dst_unused:UNUSED_PAD src0_sel:WORD_1 src1_sel:DWORD
	v_mul_f16_sdwa v15, v73, v12 dst_sel:DWORD dst_unused:UNUSED_PAD src0_sel:WORD_1 src1_sel:DWORD
	v_add_co_ci_u32_e32 v4, vcc_lo, s1, v2, vcc_lo
	global_store_dword v[1:2], v5, off
	global_store_dword v[3:4], v13, off
	v_or_b32_sdwa v5, v7, v9 dst_sel:DWORD dst_unused:UNUSED_PAD src0_sel:DWORD src1_sel:WORD_0
	v_fmac_f16_e32 v11, v73, v12
	v_fma_f16 v7, v73, v8, -v15
	v_lshrrev_b32_e32 v8, 16, v10
	v_add_co_u32 v1, vcc_lo, v3, s2
	v_add_co_ci_u32_e32 v2, vcc_lo, s3, v4, vcc_lo
	v_mul_f16_e32 v3, 0x400, v11
	v_mul_f16_sdwa v4, v7, v0 dst_sel:WORD_1 dst_unused:UNUSED_PAD src0_sel:DWORD src1_sel:DWORD
	v_mul_f16_sdwa v7, v69, v8 dst_sel:DWORD dst_unused:UNUSED_PAD src0_sel:WORD_1 src1_sel:DWORD
	v_mul_f16_sdwa v9, v69, v10 dst_sel:DWORD dst_unused:UNUSED_PAD src0_sel:WORD_1 src1_sel:DWORD
	v_lshrrev_b32_e32 v11, 16, v6
	global_store_dword v[1:2], v5, off
	v_or_b32_sdwa v3, v4, v3 dst_sel:DWORD dst_unused:UNUSED_PAD src0_sel:DWORD src1_sel:WORD_0
	v_fmac_f16_e32 v7, v69, v10
	v_fma_f16 v4, v69, v8, -v9
	v_mul_f16_sdwa v5, v71, v11 dst_sel:DWORD dst_unused:UNUSED_PAD src0_sel:WORD_1 src1_sel:DWORD
	v_mul_f16_sdwa v8, v71, v6 dst_sel:DWORD dst_unused:UNUSED_PAD src0_sel:WORD_1 src1_sel:DWORD
	v_add_co_u32 v1, vcc_lo, v1, s2
	v_add_co_ci_u32_e32 v2, vcc_lo, s3, v2, vcc_lo
	v_mul_f16_e32 v7, 0x400, v7
	v_mul_f16_sdwa v4, v4, v0 dst_sel:WORD_1 dst_unused:UNUSED_PAD src0_sel:DWORD src1_sel:DWORD
	v_fmac_f16_e32 v5, v71, v6
	v_fma_f16 v6, v71, v11, -v8
	v_lshrrev_b32_e32 v8, 16, v14
	global_store_dword v[1:2], v3, off
	v_or_b32_sdwa v7, v4, v7 dst_sel:DWORD dst_unused:UNUSED_PAD src0_sel:DWORD src1_sel:WORD_0
	v_mul_f16_e32 v3, 0x400, v5
	v_mul_f16_sdwa v4, v6, v0 dst_sel:WORD_1 dst_unused:UNUSED_PAD src0_sel:DWORD src1_sel:DWORD
	v_mul_f16_sdwa v5, v72, v8 dst_sel:DWORD dst_unused:UNUSED_PAD src0_sel:WORD_1 src1_sel:DWORD
	v_mul_f16_sdwa v6, v72, v14 dst_sel:DWORD dst_unused:UNUSED_PAD src0_sel:WORD_1 src1_sel:DWORD
	v_add_co_u32 v1, vcc_lo, v1, s2
	v_add_co_ci_u32_e32 v2, vcc_lo, s3, v2, vcc_lo
	v_fmac_f16_e32 v5, v72, v14
	v_fma_f16 v6, v72, v8, -v6
	v_or_b32_sdwa v9, v4, v3 dst_sel:DWORD dst_unused:UNUSED_PAD src0_sel:DWORD src1_sel:WORD_0
	v_add_co_u32 v3, vcc_lo, v1, s2
	v_mul_f16_e32 v8, 0x400, v5
	v_mul_f16_sdwa v10, v6, v0 dst_sel:WORD_1 dst_unused:UNUSED_PAD src0_sel:DWORD src1_sel:DWORD
	v_lshrrev_b32_e32 v11, 16, v18
	ds_read2st64_b32 v[5:6], v52 offset0:16 offset1:24
	v_add_co_ci_u32_e32 v4, vcc_lo, s3, v2, vcc_lo
	global_store_dword v[1:2], v7, off
	global_store_dword v[3:4], v9, off
	v_or_b32_sdwa v7, v10, v8 dst_sel:DWORD dst_unused:UNUSED_PAD src0_sel:DWORD src1_sel:WORD_0
	v_mul_f16_sdwa v8, v67, v11 dst_sel:DWORD dst_unused:UNUSED_PAD src0_sel:WORD_1 src1_sel:DWORD
	v_mul_f16_sdwa v9, v67, v18 dst_sel:DWORD dst_unused:UNUSED_PAD src0_sel:WORD_1 src1_sel:DWORD
	v_add_co_u32 v1, vcc_lo, v3, s2
	v_lshrrev_b32_e32 v10, 16, v16
	v_add_co_ci_u32_e32 v2, vcc_lo, s3, v4, vcc_lo
	v_fmac_f16_e32 v8, v67, v18
	v_fma_f16 v3, v67, v11, -v9
	v_mul_f16_sdwa v4, v70, v16 dst_sel:DWORD dst_unused:UNUSED_PAD src0_sel:WORD_1 src1_sel:DWORD
	v_mul_f16_sdwa v9, v70, v10 dst_sel:DWORD dst_unused:UNUSED_PAD src0_sel:WORD_1 src1_sel:DWORD
	global_store_dword v[1:2], v7, off
	v_mul_f16_e32 v7, 0x400, v8
	v_mul_f16_sdwa v8, v3, v0 dst_sel:WORD_1 dst_unused:UNUSED_PAD src0_sel:DWORD src1_sel:DWORD
	v_fma_f16 v10, v70, v10, -v4
	ds_read2st64_b32 v[3:4], v52 offset0:48 offset1:56
	s_waitcnt lgkmcnt(1)
	v_lshrrev_b32_e32 v11, 16, v5
	v_fmac_f16_e32 v9, v70, v16
	v_or_b32_sdwa v13, v8, v7 dst_sel:DWORD dst_unused:UNUSED_PAD src0_sel:DWORD src1_sel:WORD_0
	ds_read2st64_b32 v[7:8], v52 offset0:80 offset1:88
	v_mul_f16_sdwa v14, v66, v5 dst_sel:DWORD dst_unused:UNUSED_PAD src0_sel:WORD_1 src1_sel:DWORD
	v_mul_f16_sdwa v12, v66, v11 dst_sel:DWORD dst_unused:UNUSED_PAD src0_sel:WORD_1 src1_sel:DWORD
	v_mul_f16_e32 v9, 0x400, v9
	v_mul_f16_sdwa v10, v10, v0 dst_sel:WORD_1 dst_unused:UNUSED_PAD src0_sel:DWORD src1_sel:DWORD
	v_add_co_u32 v1, vcc_lo, v1, s2
	v_fmac_f16_e32 v12, v66, v5
	v_fma_f16 v5, v66, v11, -v14
	v_add_co_ci_u32_e32 v2, vcc_lo, s3, v2, vcc_lo
	v_or_b32_sdwa v15, v10, v9 dst_sel:DWORD dst_unused:UNUSED_PAD src0_sel:DWORD src1_sel:WORD_0
	v_add_co_u32 v9, vcc_lo, v1, s2
	v_mul_f16_e32 v14, 0x400, v12
	v_mul_f16_sdwa v5, v5, v0 dst_sel:WORD_1 dst_unused:UNUSED_PAD src0_sel:DWORD src1_sel:DWORD
	s_waitcnt lgkmcnt(1)
	v_lshrrev_b32_e32 v16, 16, v3
	ds_read2st64_b32 v[11:12], v52 offset0:112 offset1:120
	v_add_co_ci_u32_e32 v10, vcc_lo, s3, v2, vcc_lo
	global_store_dword v[1:2], v13, off
	global_store_dword v[9:10], v15, off
	v_or_b32_sdwa v5, v5, v14 dst_sel:DWORD dst_unused:UNUSED_PAD src0_sel:DWORD src1_sel:WORD_0
	v_mul_f16_sdwa v13, v68, v16 dst_sel:DWORD dst_unused:UNUSED_PAD src0_sel:WORD_1 src1_sel:DWORD
	v_mul_f16_sdwa v14, v68, v3 dst_sel:DWORD dst_unused:UNUSED_PAD src0_sel:WORD_1 src1_sel:DWORD
	s_waitcnt lgkmcnt(1)
	v_lshrrev_b32_e32 v15, 16, v7
	v_add_co_u32 v1, vcc_lo, v9, s0
	v_add_co_ci_u32_e32 v2, vcc_lo, s1, v10, vcc_lo
	v_fmac_f16_e32 v13, v68, v3
	v_fma_f16 v3, v68, v16, -v14
	v_mul_f16_sdwa v14, v65, v15 dst_sel:DWORD dst_unused:UNUSED_PAD src0_sel:WORD_1 src1_sel:DWORD
	ds_read2st64_b32 v[9:10], v52 offset0:144 offset1:152
	v_mul_f16_sdwa v16, v65, v7 dst_sel:DWORD dst_unused:UNUSED_PAD src0_sel:WORD_1 src1_sel:DWORD
	v_mul_f16_e32 v13, 0x400, v13
	v_mul_f16_sdwa v3, v3, v0 dst_sel:WORD_1 dst_unused:UNUSED_PAD src0_sel:DWORD src1_sel:DWORD
	v_fmac_f16_e32 v14, v65, v7
	global_store_dword v[1:2], v5, off
	v_fma_f16 v7, v65, v15, -v16
	s_waitcnt lgkmcnt(1)
	v_lshrrev_b32_e32 v15, 16, v11
	v_or_b32_sdwa v3, v3, v13 dst_sel:DWORD dst_unused:UNUSED_PAD src0_sel:DWORD src1_sel:WORD_0
	v_mul_f16_e32 v5, 0x400, v14
	ds_read2st64_b32 v[13:14], v52 offset0:176 offset1:184
	v_mul_f16_sdwa v7, v7, v0 dst_sel:WORD_1 dst_unused:UNUSED_PAD src0_sel:DWORD src1_sel:DWORD
	v_mul_f16_sdwa v19, v64, v15 dst_sel:DWORD dst_unused:UNUSED_PAD src0_sel:WORD_1 src1_sel:DWORD
	v_mul_f16_sdwa v16, v64, v11 dst_sel:DWORD dst_unused:UNUSED_PAD src0_sel:WORD_1 src1_sel:DWORD
	ds_read2st64_b32 v[17:18], v52 offset0:208 offset1:216
	v_add_co_u32 v1, vcc_lo, v1, s2
	v_add_co_ci_u32_e32 v2, vcc_lo, s3, v2, vcc_lo
	v_or_b32_sdwa v5, v7, v5 dst_sel:DWORD dst_unused:UNUSED_PAD src0_sel:DWORD src1_sel:WORD_0
	v_fmac_f16_e32 v19, v64, v11
	v_fma_f16 v7, v64, v15, -v16
	s_waitcnt lgkmcnt(2)
	v_lshrrev_b32_e32 v11, 16, v9
	v_add_co_u32 v15, vcc_lo, v1, s2
	v_add_co_ci_u32_e32 v16, vcc_lo, s3, v2, vcc_lo
	v_mul_f16_e32 v19, 0x400, v19
	v_mul_f16_sdwa v7, v7, v0 dst_sel:WORD_1 dst_unused:UNUSED_PAD src0_sel:DWORD src1_sel:DWORD
	v_mul_f16_sdwa v20, v63, v11 dst_sel:DWORD dst_unused:UNUSED_PAD src0_sel:WORD_1 src1_sel:DWORD
	v_mul_f16_sdwa v21, v63, v9 dst_sel:DWORD dst_unused:UNUSED_PAD src0_sel:WORD_1 src1_sel:DWORD
	global_store_dword v[1:2], v3, off
	global_store_dword v[15:16], v5, off
	v_add_co_u32 v1, vcc_lo, v15, s2
	v_or_b32_sdwa v3, v7, v19 dst_sel:DWORD dst_unused:UNUSED_PAD src0_sel:DWORD src1_sel:WORD_0
	v_fmac_f16_e32 v20, v63, v9
	v_fma_f16 v5, v63, v11, -v21
	s_waitcnt lgkmcnt(1)
	v_lshrrev_b32_e32 v7, 16, v13
	v_add_co_ci_u32_e32 v2, vcc_lo, s3, v16, vcc_lo
	ds_read2st64_b32 v[15:16], v52 offset0:240 offset1:248
	v_mul_f16_e32 v9, 0x400, v20
	v_mul_f16_sdwa v5, v5, v0 dst_sel:WORD_1 dst_unused:UNUSED_PAD src0_sel:DWORD src1_sel:DWORD
	v_mul_f16_sdwa v11, v62, v7 dst_sel:DWORD dst_unused:UNUSED_PAD src0_sel:WORD_1 src1_sel:DWORD
	v_mul_f16_sdwa v19, v62, v13 dst_sel:DWORD dst_unused:UNUSED_PAD src0_sel:WORD_1 src1_sel:DWORD
	s_waitcnt lgkmcnt(1)
	v_lshrrev_b32_e32 v20, 16, v17
	global_store_dword v[1:2], v3, off
	v_or_b32_sdwa v3, v5, v9 dst_sel:DWORD dst_unused:UNUSED_PAD src0_sel:DWORD src1_sel:WORD_0
	v_fmac_f16_e32 v11, v62, v13
	v_fma_f16 v5, v62, v7, -v19
	v_mul_f16_sdwa v7, v61, v20 dst_sel:DWORD dst_unused:UNUSED_PAD src0_sel:WORD_1 src1_sel:DWORD
	v_mul_f16_sdwa v9, v61, v17 dst_sel:DWORD dst_unused:UNUSED_PAD src0_sel:WORD_1 src1_sel:DWORD
	v_add_co_u32 v1, vcc_lo, v1, s2
	v_add_co_ci_u32_e32 v2, vcc_lo, s3, v2, vcc_lo
	v_mul_f16_e32 v11, 0x400, v11
	v_mul_f16_sdwa v5, v5, v0 dst_sel:WORD_1 dst_unused:UNUSED_PAD src0_sel:DWORD src1_sel:DWORD
	v_fmac_f16_e32 v7, v61, v17
	v_fma_f16 v9, v61, v20, -v9
	s_waitcnt lgkmcnt(0)
	v_lshrrev_b32_e32 v13, 16, v15
	global_store_dword v[1:2], v3, off
	v_or_b32_sdwa v3, v5, v11 dst_sel:DWORD dst_unused:UNUSED_PAD src0_sel:DWORD src1_sel:WORD_0
	v_mul_f16_e32 v5, 0x400, v7
	v_mul_f16_sdwa v7, v9, v0 dst_sel:WORD_1 dst_unused:UNUSED_PAD src0_sel:DWORD src1_sel:DWORD
	v_mul_f16_sdwa v11, v60, v15 dst_sel:DWORD dst_unused:UNUSED_PAD src0_sel:WORD_1 src1_sel:DWORD
	v_add_co_u32 v1, vcc_lo, v1, s2
	v_mul_f16_sdwa v9, v60, v13 dst_sel:DWORD dst_unused:UNUSED_PAD src0_sel:WORD_1 src1_sel:DWORD
	v_or_b32_sdwa v5, v7, v5 dst_sel:DWORD dst_unused:UNUSED_PAD src0_sel:DWORD src1_sel:WORD_0
	v_fma_f16 v7, v60, v13, -v11
	v_lshrrev_b32_e32 v11, 16, v6
	v_add_co_ci_u32_e32 v2, vcc_lo, s3, v2, vcc_lo
	v_add_co_u32 v19, vcc_lo, v1, s2
	v_fmac_f16_e32 v9, v60, v15
	v_mul_f16_sdwa v13, v59, v11 dst_sel:DWORD dst_unused:UNUSED_PAD src0_sel:WORD_1 src1_sel:DWORD
	v_mul_f16_sdwa v15, v59, v6 dst_sel:DWORD dst_unused:UNUSED_PAD src0_sel:WORD_1 src1_sel:DWORD
	v_add_co_ci_u32_e32 v20, vcc_lo, s3, v2, vcc_lo
	v_mul_f16_e32 v9, 0x400, v9
	v_mul_f16_sdwa v7, v7, v0 dst_sel:WORD_1 dst_unused:UNUSED_PAD src0_sel:DWORD src1_sel:DWORD
	global_store_dword v[1:2], v3, off
	global_store_dword v[19:20], v5, off
	v_fmac_f16_e32 v13, v59, v6
	v_fma_f16 v5, v59, v11, -v15
	v_lshrrev_b32_e32 v6, 16, v4
	v_add_co_u32 v1, vcc_lo, v19, s2
	v_or_b32_sdwa v3, v7, v9 dst_sel:DWORD dst_unused:UNUSED_PAD src0_sel:DWORD src1_sel:WORD_0
	v_add_co_ci_u32_e32 v2, vcc_lo, s3, v20, vcc_lo
	v_mul_f16_e32 v7, 0x400, v13
	v_mul_f16_sdwa v5, v5, v0 dst_sel:WORD_1 dst_unused:UNUSED_PAD src0_sel:DWORD src1_sel:DWORD
	v_mul_f16_sdwa v9, v58, v6 dst_sel:DWORD dst_unused:UNUSED_PAD src0_sel:WORD_1 src1_sel:DWORD
	v_mul_f16_sdwa v11, v58, v4 dst_sel:DWORD dst_unused:UNUSED_PAD src0_sel:WORD_1 src1_sel:DWORD
	v_lshrrev_b32_e32 v13, 16, v8
	global_store_dword v[1:2], v3, off
	v_or_b32_sdwa v3, v5, v7 dst_sel:DWORD dst_unused:UNUSED_PAD src0_sel:DWORD src1_sel:WORD_0
	v_fmac_f16_e32 v9, v58, v4
	v_fma_f16 v4, v58, v6, -v11
	v_mul_f16_sdwa v5, v57, v13 dst_sel:DWORD dst_unused:UNUSED_PAD src0_sel:WORD_1 src1_sel:DWORD
	v_mul_f16_sdwa v6, v57, v8 dst_sel:DWORD dst_unused:UNUSED_PAD src0_sel:WORD_1 src1_sel:DWORD
	v_add_co_u32 v1, vcc_lo, v1, s0
	v_add_co_ci_u32_e32 v2, vcc_lo, s1, v2, vcc_lo
	v_mul_f16_e32 v7, 0x400, v9
	v_mul_f16_sdwa v4, v4, v0 dst_sel:WORD_1 dst_unused:UNUSED_PAD src0_sel:DWORD src1_sel:DWORD
	v_fmac_f16_e32 v5, v57, v8
	v_fma_f16 v6, v57, v13, -v6
	v_lshrrev_b32_e32 v8, 16, v12
	global_store_dword v[1:2], v3, off
	v_or_b32_sdwa v7, v4, v7 dst_sel:DWORD dst_unused:UNUSED_PAD src0_sel:DWORD src1_sel:WORD_0
	v_mul_f16_e32 v3, 0x400, v5
	v_mul_f16_sdwa v4, v6, v0 dst_sel:WORD_1 dst_unused:UNUSED_PAD src0_sel:DWORD src1_sel:DWORD
	v_mul_f16_sdwa v5, v56, v8 dst_sel:DWORD dst_unused:UNUSED_PAD src0_sel:WORD_1 src1_sel:DWORD
	v_mul_f16_sdwa v6, v56, v12 dst_sel:DWORD dst_unused:UNUSED_PAD src0_sel:WORD_1 src1_sel:DWORD
	v_lshrrev_b32_e32 v9, 16, v10
	v_add_co_u32 v1, vcc_lo, v1, s2
	v_fmac_f16_e32 v5, v56, v12
	v_fma_f16 v6, v56, v8, -v6
	v_mul_f16_sdwa v8, v55, v9 dst_sel:DWORD dst_unused:UNUSED_PAD src0_sel:WORD_1 src1_sel:DWORD
	v_mul_f16_sdwa v12, v55, v10 dst_sel:DWORD dst_unused:UNUSED_PAD src0_sel:WORD_1 src1_sel:DWORD
	v_add_co_ci_u32_e32 v2, vcc_lo, s3, v2, vcc_lo
	v_or_b32_sdwa v11, v4, v3 dst_sel:DWORD dst_unused:UNUSED_PAD src0_sel:DWORD src1_sel:WORD_0
	v_add_co_u32 v3, vcc_lo, v1, s2
	v_mul_f16_e32 v5, 0x400, v5
	v_mul_f16_sdwa v6, v6, v0 dst_sel:WORD_1 dst_unused:UNUSED_PAD src0_sel:DWORD src1_sel:DWORD
	v_fmac_f16_e32 v8, v55, v10
	v_fma_f16 v9, v55, v9, -v12
	v_add_co_ci_u32_e32 v4, vcc_lo, s3, v2, vcc_lo
	global_store_dword v[1:2], v7, off
	global_store_dword v[3:4], v11, off
	v_or_b32_sdwa v11, v6, v5 dst_sel:DWORD dst_unused:UNUSED_PAD src0_sel:DWORD src1_sel:WORD_0
	v_mul_f16_e32 v5, 0x400, v8
	v_mul_f16_sdwa v6, v9, v0 dst_sel:WORD_1 dst_unused:UNUSED_PAD src0_sel:DWORD src1_sel:DWORD
	v_lshrrev_b32_e32 v7, 16, v14
	v_lshrrev_b32_e32 v8, 16, v18
	v_add_co_u32 v1, vcc_lo, v3, s2
	v_or_b32_sdwa v12, v6, v5 dst_sel:DWORD dst_unused:UNUSED_PAD src0_sel:DWORD src1_sel:WORD_0
	v_mul_f16_sdwa v5, v51, v7 dst_sel:DWORD dst_unused:UNUSED_PAD src0_sel:WORD_1 src1_sel:DWORD
	v_mul_f16_sdwa v6, v51, v14 dst_sel:DWORD dst_unused:UNUSED_PAD src0_sel:WORD_1 src1_sel:DWORD
	;; [unrolled: 1-line block ×3, first 2 shown]
	v_lshrrev_b32_e32 v10, 16, v16
	v_add_co_ci_u32_e32 v2, vcc_lo, s3, v4, vcc_lo
	v_fmac_f16_e32 v5, v51, v14
	v_fma_f16 v6, v51, v7, -v6
	v_mul_f16_sdwa v7, v54, v8 dst_sel:DWORD dst_unused:UNUSED_PAD src0_sel:WORD_1 src1_sel:DWORD
	v_add_co_u32 v3, vcc_lo, v1, s2
	v_mul_f16_e32 v5, 0x400, v5
	v_mul_f16_sdwa v6, v6, v0 dst_sel:WORD_1 dst_unused:UNUSED_PAD src0_sel:DWORD src1_sel:DWORD
	v_fmac_f16_e32 v7, v54, v18
	v_fma_f16 v8, v54, v8, -v9
	v_mul_f16_sdwa v9, v53, v10 dst_sel:DWORD dst_unused:UNUSED_PAD src0_sel:WORD_1 src1_sel:DWORD
	v_mul_f16_sdwa v13, v53, v16 dst_sel:DWORD dst_unused:UNUSED_PAD src0_sel:WORD_1 src1_sel:DWORD
	v_add_co_ci_u32_e32 v4, vcc_lo, s3, v2, vcc_lo
	v_or_b32_sdwa v14, v6, v5 dst_sel:DWORD dst_unused:UNUSED_PAD src0_sel:DWORD src1_sel:WORD_0
	v_mul_f16_e32 v7, 0x400, v7
	v_mul_f16_sdwa v8, v8, v0 dst_sel:WORD_1 dst_unused:UNUSED_PAD src0_sel:DWORD src1_sel:DWORD
	v_fmac_f16_e32 v9, v53, v16
	v_fma_f16 v10, v53, v10, -v13
	v_add_co_u32 v5, vcc_lo, v3, s2
	v_add_co_ci_u32_e32 v6, vcc_lo, s3, v4, vcc_lo
	v_or_b32_sdwa v13, v8, v7 dst_sel:DWORD dst_unused:UNUSED_PAD src0_sel:DWORD src1_sel:WORD_0
	v_mul_f16_e32 v9, 0x400, v9
	v_mul_f16_sdwa v0, v10, v0 dst_sel:WORD_1 dst_unused:UNUSED_PAD src0_sel:DWORD src1_sel:DWORD
	v_add_co_u32 v7, vcc_lo, v5, s2
	v_add_co_ci_u32_e32 v8, vcc_lo, s3, v6, vcc_lo
	v_or_b32_sdwa v0, v0, v9 dst_sel:DWORD dst_unused:UNUSED_PAD src0_sel:DWORD src1_sel:WORD_0
	v_add_co_u32 v9, vcc_lo, v7, s2
	v_add_co_ci_u32_e32 v10, vcc_lo, s3, v8, vcc_lo
	global_store_dword v[1:2], v11, off
	global_store_dword v[3:4], v12, off
	;; [unrolled: 1-line block ×5, first 2 shown]
.LBB0_2:
	s_endpgm
	.section	.rodata,"a",@progbits
	.p2align	6, 0x0
	.amdhsa_kernel bluestein_single_back_len16384_dim1_half_op_CI_CI
		.amdhsa_group_segment_fixed_size 65536
		.amdhsa_private_segment_fixed_size 0
		.amdhsa_kernarg_size 104
		.amdhsa_user_sgpr_count 6
		.amdhsa_user_sgpr_private_segment_buffer 1
		.amdhsa_user_sgpr_dispatch_ptr 0
		.amdhsa_user_sgpr_queue_ptr 0
		.amdhsa_user_sgpr_kernarg_segment_ptr 1
		.amdhsa_user_sgpr_dispatch_id 0
		.amdhsa_user_sgpr_flat_scratch_init 0
		.amdhsa_user_sgpr_private_segment_size 0
		.amdhsa_wavefront_size32 1
		.amdhsa_uses_dynamic_stack 0
		.amdhsa_system_sgpr_private_segment_wavefront_offset 0
		.amdhsa_system_sgpr_workgroup_id_x 1
		.amdhsa_system_sgpr_workgroup_id_y 0
		.amdhsa_system_sgpr_workgroup_id_z 0
		.amdhsa_system_sgpr_workgroup_info 0
		.amdhsa_system_vgpr_workitem_id 0
		.amdhsa_next_free_vgpr 155
		.amdhsa_next_free_sgpr 20
		.amdhsa_reserve_vcc 1
		.amdhsa_reserve_flat_scratch 0
		.amdhsa_float_round_mode_32 0
		.amdhsa_float_round_mode_16_64 0
		.amdhsa_float_denorm_mode_32 3
		.amdhsa_float_denorm_mode_16_64 3
		.amdhsa_dx10_clamp 1
		.amdhsa_ieee_mode 1
		.amdhsa_fp16_overflow 0
		.amdhsa_workgroup_processor_mode 1
		.amdhsa_memory_ordered 1
		.amdhsa_forward_progress 0
		.amdhsa_shared_vgpr_count 0
		.amdhsa_exception_fp_ieee_invalid_op 0
		.amdhsa_exception_fp_denorm_src 0
		.amdhsa_exception_fp_ieee_div_zero 0
		.amdhsa_exception_fp_ieee_overflow 0
		.amdhsa_exception_fp_ieee_underflow 0
		.amdhsa_exception_fp_ieee_inexact 0
		.amdhsa_exception_int_div_zero 0
	.end_amdhsa_kernel
	.text
.Lfunc_end0:
	.size	bluestein_single_back_len16384_dim1_half_op_CI_CI, .Lfunc_end0-bluestein_single_back_len16384_dim1_half_op_CI_CI
                                        ; -- End function
	.section	.AMDGPU.csdata,"",@progbits
; Kernel info:
; codeLenInByte = 33568
; NumSgprs: 22
; NumVgprs: 155
; ScratchSize: 0
; MemoryBound: 0
; FloatMode: 240
; IeeeMode: 1
; LDSByteSize: 65536 bytes/workgroup (compile time only)
; SGPRBlocks: 2
; VGPRBlocks: 19
; NumSGPRsForWavesPerEU: 22
; NumVGPRsForWavesPerEU: 155
; Occupancy: 6
; WaveLimiterHint : 1
; COMPUTE_PGM_RSRC2:SCRATCH_EN: 0
; COMPUTE_PGM_RSRC2:USER_SGPR: 6
; COMPUTE_PGM_RSRC2:TRAP_HANDLER: 0
; COMPUTE_PGM_RSRC2:TGID_X_EN: 1
; COMPUTE_PGM_RSRC2:TGID_Y_EN: 0
; COMPUTE_PGM_RSRC2:TGID_Z_EN: 0
; COMPUTE_PGM_RSRC2:TIDIG_COMP_CNT: 0
	.text
	.p2alignl 6, 3214868480
	.fill 48, 4, 3214868480
	.type	__hip_cuid_108fa729269934d,@object ; @__hip_cuid_108fa729269934d
	.section	.bss,"aw",@nobits
	.globl	__hip_cuid_108fa729269934d
__hip_cuid_108fa729269934d:
	.byte	0                               ; 0x0
	.size	__hip_cuid_108fa729269934d, 1

	.ident	"AMD clang version 19.0.0git (https://github.com/RadeonOpenCompute/llvm-project roc-6.4.0 25133 c7fe45cf4b819c5991fe208aaa96edf142730f1d)"
	.section	".note.GNU-stack","",@progbits
	.addrsig
	.addrsig_sym __hip_cuid_108fa729269934d
	.amdgpu_metadata
---
amdhsa.kernels:
  - .args:
      - .actual_access:  read_only
        .address_space:  global
        .offset:         0
        .size:           8
        .value_kind:     global_buffer
      - .actual_access:  read_only
        .address_space:  global
        .offset:         8
        .size:           8
        .value_kind:     global_buffer
      - .actual_access:  read_only
        .address_space:  global
        .offset:         16
        .size:           8
        .value_kind:     global_buffer
      - .actual_access:  read_only
        .address_space:  global
        .offset:         24
        .size:           8
        .value_kind:     global_buffer
      - .actual_access:  read_only
        .address_space:  global
        .offset:         32
        .size:           8
        .value_kind:     global_buffer
      - .offset:         40
        .size:           8
        .value_kind:     by_value
      - .address_space:  global
        .offset:         48
        .size:           8
        .value_kind:     global_buffer
      - .address_space:  global
        .offset:         56
        .size:           8
        .value_kind:     global_buffer
      - .address_space:  global
        .offset:         64
        .size:           8
        .value_kind:     global_buffer
      - .address_space:  global
        .offset:         72
        .size:           8
        .value_kind:     global_buffer
      - .offset:         80
        .size:           4
        .value_kind:     by_value
      - .address_space:  global
        .offset:         88
        .size:           8
        .value_kind:     global_buffer
      - .address_space:  global
        .offset:         96
        .size:           8
        .value_kind:     global_buffer
    .group_segment_fixed_size: 65536
    .kernarg_segment_align: 8
    .kernarg_segment_size: 104
    .language:       OpenCL C
    .language_version:
      - 2
      - 0
    .max_flat_workgroup_size: 512
    .name:           bluestein_single_back_len16384_dim1_half_op_CI_CI
    .private_segment_fixed_size: 0
    .sgpr_count:     22
    .sgpr_spill_count: 0
    .symbol:         bluestein_single_back_len16384_dim1_half_op_CI_CI.kd
    .uniform_work_group_size: 1
    .uses_dynamic_stack: false
    .vgpr_count:     155
    .vgpr_spill_count: 0
    .wavefront_size: 32
    .workgroup_processor_mode: 1
amdhsa.target:   amdgcn-amd-amdhsa--gfx1030
amdhsa.version:
  - 1
  - 2
...

	.end_amdgpu_metadata
